;; amdgpu-corpus repo=ROCm/rocFFT kind=compiled arch=gfx1201 opt=O3
	.text
	.amdgcn_target "amdgcn-amd-amdhsa--gfx1201"
	.amdhsa_code_object_version 6
	.protected	fft_rtc_back_len2401_factors_7_7_7_7_wgs_49_tpt_49_halfLds_dp_op_CI_CI_sbrr_dirReg ; -- Begin function fft_rtc_back_len2401_factors_7_7_7_7_wgs_49_tpt_49_halfLds_dp_op_CI_CI_sbrr_dirReg
	.globl	fft_rtc_back_len2401_factors_7_7_7_7_wgs_49_tpt_49_halfLds_dp_op_CI_CI_sbrr_dirReg
	.p2align	8
	.type	fft_rtc_back_len2401_factors_7_7_7_7_wgs_49_tpt_49_halfLds_dp_op_CI_CI_sbrr_dirReg,@function
fft_rtc_back_len2401_factors_7_7_7_7_wgs_49_tpt_49_halfLds_dp_op_CI_CI_sbrr_dirReg: ; @fft_rtc_back_len2401_factors_7_7_7_7_wgs_49_tpt_49_halfLds_dp_op_CI_CI_sbrr_dirReg
; %bb.0:
	s_clause 0x2
	s_load_b128 s[12:15], s[0:1], 0x18
	s_load_b128 s[8:11], s[0:1], 0x0
	;; [unrolled: 1-line block ×3, first 2 shown]
	v_mul_u32_u24_e32 v1, 0x53a, v0
	v_mov_b32_e32 v4, 0
	v_mov_b32_e32 v5, 0
	s_wait_kmcnt 0x0
	s_load_b64 s[18:19], s[12:13], 0x0
	s_load_b64 s[16:17], s[14:15], 0x0
	v_lshrrev_b32_e32 v2, 16, v1
	v_mov_b32_e32 v1, 0
	v_cmp_lt_u64_e64 s2, s[10:11], 2
	s_delay_alu instid0(VALU_DEP_2) | instskip(NEXT) | instid1(VALU_DEP_2)
	v_dual_mov_b32 v7, v1 :: v_dual_add_nc_u32 v6, ttmp9, v2
	s_and_b32 vcc_lo, exec_lo, s2
	s_cbranch_vccnz .LBB0_8
; %bb.1:
	s_load_b64 s[2:3], s[0:1], 0x10
	v_mov_b32_e32 v4, 0
	v_mov_b32_e32 v5, 0
	s_add_nc_u64 s[20:21], s[14:15], 8
	s_add_nc_u64 s[22:23], s[12:13], 8
	s_mov_b64 s[24:25], 1
	s_delay_alu instid0(VALU_DEP_1)
	v_dual_mov_b32 v197, v5 :: v_dual_mov_b32 v196, v4
	s_wait_kmcnt 0x0
	s_add_nc_u64 s[26:27], s[2:3], 8
	s_mov_b32 s3, 0
.LBB0_2:                                ; =>This Inner Loop Header: Depth=1
	s_load_b64 s[28:29], s[26:27], 0x0
                                        ; implicit-def: $vgpr198_vgpr199
	s_mov_b32 s2, exec_lo
	s_wait_kmcnt 0x0
	v_or_b32_e32 v2, s29, v7
	s_delay_alu instid0(VALU_DEP_1)
	v_cmpx_ne_u64_e32 0, v[1:2]
	s_wait_alu 0xfffe
	s_xor_b32 s30, exec_lo, s2
	s_cbranch_execz .LBB0_4
; %bb.3:                                ;   in Loop: Header=BB0_2 Depth=1
	s_cvt_f32_u32 s2, s28
	s_cvt_f32_u32 s31, s29
	s_sub_nc_u64 s[36:37], 0, s[28:29]
	s_wait_alu 0xfffe
	s_delay_alu instid0(SALU_CYCLE_1) | instskip(SKIP_1) | instid1(SALU_CYCLE_2)
	s_fmamk_f32 s2, s31, 0x4f800000, s2
	s_wait_alu 0xfffe
	v_s_rcp_f32 s2, s2
	s_delay_alu instid0(TRANS32_DEP_1) | instskip(SKIP_1) | instid1(SALU_CYCLE_2)
	s_mul_f32 s2, s2, 0x5f7ffffc
	s_wait_alu 0xfffe
	s_mul_f32 s31, s2, 0x2f800000
	s_wait_alu 0xfffe
	s_delay_alu instid0(SALU_CYCLE_2) | instskip(SKIP_1) | instid1(SALU_CYCLE_2)
	s_trunc_f32 s31, s31
	s_wait_alu 0xfffe
	s_fmamk_f32 s2, s31, 0xcf800000, s2
	s_cvt_u32_f32 s35, s31
	s_wait_alu 0xfffe
	s_delay_alu instid0(SALU_CYCLE_1) | instskip(SKIP_1) | instid1(SALU_CYCLE_2)
	s_cvt_u32_f32 s34, s2
	s_wait_alu 0xfffe
	s_mul_u64 s[38:39], s[36:37], s[34:35]
	s_wait_alu 0xfffe
	s_mul_hi_u32 s41, s34, s39
	s_mul_i32 s40, s34, s39
	s_mul_hi_u32 s2, s34, s38
	s_mul_i32 s33, s35, s38
	s_wait_alu 0xfffe
	s_add_nc_u64 s[40:41], s[2:3], s[40:41]
	s_mul_hi_u32 s31, s35, s38
	s_mul_hi_u32 s42, s35, s39
	s_add_co_u32 s2, s40, s33
	s_wait_alu 0xfffe
	s_add_co_ci_u32 s2, s41, s31
	s_mul_i32 s38, s35, s39
	s_add_co_ci_u32 s39, s42, 0
	s_wait_alu 0xfffe
	s_add_nc_u64 s[38:39], s[2:3], s[38:39]
	s_wait_alu 0xfffe
	v_add_co_u32 v2, s2, s34, s38
	s_delay_alu instid0(VALU_DEP_1) | instskip(SKIP_1) | instid1(VALU_DEP_1)
	s_cmp_lg_u32 s2, 0
	s_add_co_ci_u32 s35, s35, s39
	v_readfirstlane_b32 s34, v2
	s_wait_alu 0xfffe
	s_delay_alu instid0(VALU_DEP_1)
	s_mul_u64 s[36:37], s[36:37], s[34:35]
	s_wait_alu 0xfffe
	s_mul_hi_u32 s39, s34, s37
	s_mul_i32 s38, s34, s37
	s_mul_hi_u32 s2, s34, s36
	s_mul_i32 s33, s35, s36
	s_wait_alu 0xfffe
	s_add_nc_u64 s[38:39], s[2:3], s[38:39]
	s_mul_hi_u32 s31, s35, s36
	s_mul_hi_u32 s34, s35, s37
	s_wait_alu 0xfffe
	s_add_co_u32 s2, s38, s33
	s_add_co_ci_u32 s2, s39, s31
	s_mul_i32 s36, s35, s37
	s_add_co_ci_u32 s37, s34, 0
	s_wait_alu 0xfffe
	s_add_nc_u64 s[36:37], s[2:3], s[36:37]
	s_wait_alu 0xfffe
	v_add_co_u32 v8, s2, v2, s36
	s_delay_alu instid0(VALU_DEP_1) | instskip(SKIP_1) | instid1(VALU_DEP_1)
	s_cmp_lg_u32 s2, 0
	s_add_co_ci_u32 s2, s35, s37
	v_mul_hi_u32 v12, v6, v8
	s_wait_alu 0xfffe
	v_mad_co_u64_u32 v[2:3], null, v6, s2, 0
	v_mad_co_u64_u32 v[8:9], null, v7, v8, 0
	;; [unrolled: 1-line block ×3, first 2 shown]
	s_delay_alu instid0(VALU_DEP_3) | instskip(SKIP_1) | instid1(VALU_DEP_4)
	v_add_co_u32 v2, vcc_lo, v12, v2
	s_wait_alu 0xfffd
	v_add_co_ci_u32_e32 v3, vcc_lo, 0, v3, vcc_lo
	s_delay_alu instid0(VALU_DEP_2) | instskip(SKIP_1) | instid1(VALU_DEP_2)
	v_add_co_u32 v2, vcc_lo, v2, v8
	s_wait_alu 0xfffd
	v_add_co_ci_u32_e32 v2, vcc_lo, v3, v9, vcc_lo
	s_wait_alu 0xfffd
	v_add_co_ci_u32_e32 v3, vcc_lo, 0, v11, vcc_lo
	s_delay_alu instid0(VALU_DEP_2) | instskip(SKIP_1) | instid1(VALU_DEP_2)
	v_add_co_u32 v8, vcc_lo, v2, v10
	s_wait_alu 0xfffd
	v_add_co_ci_u32_e32 v9, vcc_lo, 0, v3, vcc_lo
	s_delay_alu instid0(VALU_DEP_2) | instskip(SKIP_1) | instid1(VALU_DEP_3)
	v_mul_lo_u32 v10, s29, v8
	v_mad_co_u64_u32 v[2:3], null, s28, v8, 0
	v_mul_lo_u32 v11, s28, v9
	s_delay_alu instid0(VALU_DEP_2) | instskip(NEXT) | instid1(VALU_DEP_2)
	v_sub_co_u32 v2, vcc_lo, v6, v2
	v_add3_u32 v3, v3, v11, v10
	s_delay_alu instid0(VALU_DEP_1) | instskip(SKIP_1) | instid1(VALU_DEP_1)
	v_sub_nc_u32_e32 v10, v7, v3
	s_wait_alu 0xfffd
	v_subrev_co_ci_u32_e64 v10, s2, s29, v10, vcc_lo
	v_add_co_u32 v11, s2, v8, 2
	s_wait_alu 0xf1ff
	v_add_co_ci_u32_e64 v12, s2, 0, v9, s2
	v_sub_co_u32 v13, s2, v2, s28
	v_sub_co_ci_u32_e32 v3, vcc_lo, v7, v3, vcc_lo
	s_wait_alu 0xf1ff
	v_subrev_co_ci_u32_e64 v10, s2, 0, v10, s2
	s_delay_alu instid0(VALU_DEP_3) | instskip(NEXT) | instid1(VALU_DEP_3)
	v_cmp_le_u32_e32 vcc_lo, s28, v13
	v_cmp_eq_u32_e64 s2, s29, v3
	s_wait_alu 0xfffd
	v_cndmask_b32_e64 v13, 0, -1, vcc_lo
	v_cmp_le_u32_e32 vcc_lo, s29, v10
	s_wait_alu 0xfffd
	v_cndmask_b32_e64 v14, 0, -1, vcc_lo
	v_cmp_le_u32_e32 vcc_lo, s28, v2
	;; [unrolled: 3-line block ×3, first 2 shown]
	s_wait_alu 0xfffd
	v_cndmask_b32_e64 v15, 0, -1, vcc_lo
	v_cmp_eq_u32_e32 vcc_lo, s29, v10
	s_wait_alu 0xf1ff
	s_delay_alu instid0(VALU_DEP_2)
	v_cndmask_b32_e64 v2, v15, v2, s2
	s_wait_alu 0xfffd
	v_cndmask_b32_e32 v10, v14, v13, vcc_lo
	v_add_co_u32 v13, vcc_lo, v8, 1
	s_wait_alu 0xfffd
	v_add_co_ci_u32_e32 v14, vcc_lo, 0, v9, vcc_lo
	s_delay_alu instid0(VALU_DEP_3) | instskip(SKIP_1) | instid1(VALU_DEP_2)
	v_cmp_ne_u32_e32 vcc_lo, 0, v10
	s_wait_alu 0xfffd
	v_dual_cndmask_b32 v3, v14, v12 :: v_dual_cndmask_b32 v10, v13, v11
	v_cmp_ne_u32_e32 vcc_lo, 0, v2
	s_wait_alu 0xfffd
	s_delay_alu instid0(VALU_DEP_2)
	v_dual_cndmask_b32 v199, v9, v3 :: v_dual_cndmask_b32 v198, v8, v10
.LBB0_4:                                ;   in Loop: Header=BB0_2 Depth=1
	s_wait_alu 0xfffe
	s_and_not1_saveexec_b32 s2, s30
	s_cbranch_execz .LBB0_6
; %bb.5:                                ;   in Loop: Header=BB0_2 Depth=1
	v_cvt_f32_u32_e32 v2, s28
	s_sub_co_i32 s30, 0, s28
	v_mov_b32_e32 v199, v1
	s_delay_alu instid0(VALU_DEP_2) | instskip(NEXT) | instid1(TRANS32_DEP_1)
	v_rcp_iflag_f32_e32 v2, v2
	v_mul_f32_e32 v2, 0x4f7ffffe, v2
	s_delay_alu instid0(VALU_DEP_1) | instskip(SKIP_1) | instid1(VALU_DEP_1)
	v_cvt_u32_f32_e32 v2, v2
	s_wait_alu 0xfffe
	v_mul_lo_u32 v3, s30, v2
	s_delay_alu instid0(VALU_DEP_1) | instskip(NEXT) | instid1(VALU_DEP_1)
	v_mul_hi_u32 v3, v2, v3
	v_add_nc_u32_e32 v2, v2, v3
	s_delay_alu instid0(VALU_DEP_1) | instskip(NEXT) | instid1(VALU_DEP_1)
	v_mul_hi_u32 v2, v6, v2
	v_mul_lo_u32 v3, v2, s28
	v_add_nc_u32_e32 v8, 1, v2
	s_delay_alu instid0(VALU_DEP_2) | instskip(NEXT) | instid1(VALU_DEP_1)
	v_sub_nc_u32_e32 v3, v6, v3
	v_subrev_nc_u32_e32 v9, s28, v3
	v_cmp_le_u32_e32 vcc_lo, s28, v3
	s_wait_alu 0xfffd
	s_delay_alu instid0(VALU_DEP_2) | instskip(NEXT) | instid1(VALU_DEP_1)
	v_dual_cndmask_b32 v3, v3, v9 :: v_dual_cndmask_b32 v2, v2, v8
	v_cmp_le_u32_e32 vcc_lo, s28, v3
	s_delay_alu instid0(VALU_DEP_2) | instskip(SKIP_1) | instid1(VALU_DEP_1)
	v_add_nc_u32_e32 v8, 1, v2
	s_wait_alu 0xfffd
	v_cndmask_b32_e32 v198, v2, v8, vcc_lo
.LBB0_6:                                ;   in Loop: Header=BB0_2 Depth=1
	s_wait_alu 0xfffe
	s_or_b32 exec_lo, exec_lo, s2
	v_mul_lo_u32 v8, v199, s28
	s_delay_alu instid0(VALU_DEP_2)
	v_mul_lo_u32 v9, v198, s29
	s_load_b64 s[30:31], s[22:23], 0x0
	v_mad_co_u64_u32 v[2:3], null, v198, s28, 0
	s_load_b64 s[28:29], s[20:21], 0x0
	s_add_nc_u64 s[24:25], s[24:25], 1
	s_add_nc_u64 s[20:21], s[20:21], 8
	s_wait_alu 0xfffe
	v_cmp_ge_u64_e64 s2, s[24:25], s[10:11]
	s_add_nc_u64 s[22:23], s[22:23], 8
	s_add_nc_u64 s[26:27], s[26:27], 8
	v_add3_u32 v3, v3, v9, v8
	v_sub_co_u32 v2, vcc_lo, v6, v2
	s_wait_alu 0xfffd
	s_delay_alu instid0(VALU_DEP_2) | instskip(SKIP_2) | instid1(VALU_DEP_1)
	v_sub_co_ci_u32_e32 v3, vcc_lo, v7, v3, vcc_lo
	s_and_b32 vcc_lo, exec_lo, s2
	s_wait_kmcnt 0x0
	v_mul_lo_u32 v6, s30, v3
	v_mul_lo_u32 v7, s31, v2
	v_mad_co_u64_u32 v[4:5], null, s30, v2, v[4:5]
	v_mul_lo_u32 v3, s28, v3
	v_mul_lo_u32 v8, s29, v2
	v_mad_co_u64_u32 v[196:197], null, s28, v2, v[196:197]
	s_delay_alu instid0(VALU_DEP_4) | instskip(NEXT) | instid1(VALU_DEP_2)
	v_add3_u32 v5, v7, v5, v6
	v_add3_u32 v197, v8, v197, v3
	s_wait_alu 0xfffe
	s_cbranch_vccnz .LBB0_9
; %bb.7:                                ;   in Loop: Header=BB0_2 Depth=1
	v_dual_mov_b32 v6, v198 :: v_dual_mov_b32 v7, v199
	s_branch .LBB0_2
.LBB0_8:
	v_dual_mov_b32 v197, v5 :: v_dual_mov_b32 v196, v4
	s_delay_alu instid0(VALU_DEP_2)
	v_dual_mov_b32 v199, v7 :: v_dual_mov_b32 v198, v6
.LBB0_9:
	s_load_b64 s[0:1], s[0:1], 0x28
	v_mul_hi_u32 v1, 0x539782a, v0
	s_lshl_b64 s[2:3], s[10:11], 3
                                        ; implicit-def: $vgpr200
                                        ; implicit-def: $vgpr250
                                        ; implicit-def: $vgpr244
                                        ; implicit-def: $vgpr252
                                        ; implicit-def: $vgpr253
                                        ; implicit-def: $vgpr255
                                        ; implicit-def: $vgpr254
	s_wait_kmcnt 0x0
	v_cmp_gt_u64_e32 vcc_lo, s[0:1], v[198:199]
	v_cmp_le_u64_e64 s0, s[0:1], v[198:199]
	s_delay_alu instid0(VALU_DEP_1)
	s_and_saveexec_b32 s1, s0
	s_wait_alu 0xfffe
	s_xor_b32 s0, exec_lo, s1
; %bb.10:
	v_mul_u32_u24_e32 v1, 49, v1
                                        ; implicit-def: $vgpr4_vgpr5
	s_delay_alu instid0(VALU_DEP_1) | instskip(NEXT) | instid1(VALU_DEP_1)
	v_sub_nc_u32_e32 v200, v0, v1
                                        ; implicit-def: $vgpr1
                                        ; implicit-def: $vgpr0
	v_add_nc_u32_e32 v250, 49, v200
	v_add_nc_u32_e32 v244, 0x62, v200
	;; [unrolled: 1-line block ×6, first 2 shown]
; %bb.11:
	s_wait_alu 0xfffe
	s_or_saveexec_b32 s1, s0
	s_add_nc_u64 s[26:27], s[14:15], s[2:3]
                                        ; implicit-def: $vgpr2_vgpr3
                                        ; implicit-def: $vgpr50_vgpr51
                                        ; implicit-def: $vgpr42_vgpr43
                                        ; implicit-def: $vgpr34_vgpr35
                                        ; implicit-def: $vgpr30_vgpr31
                                        ; implicit-def: $vgpr38_vgpr39
                                        ; implicit-def: $vgpr46_vgpr47
	s_clause 0x3
	scratch_store_b128 off, v[0:3], off offset:36
	; meta instruction
	; meta instruction
	; meta instruction
	; meta instruction
	; meta instruction
	; meta instruction
	; meta instruction
	scratch_store_b128 off, v[0:3], off offset:52
	; meta instruction
	; meta instruction
	; meta instruction
	; meta instruction
	; meta instruction
	; meta instruction
	; meta instruction
	;; [unrolled: 8-line block ×3, first 2 shown]
	scratch_store_b128 off, v[0:3], off offset:84
                                        ; implicit-def: $vgpr146_vgpr147
                                        ; implicit-def: $vgpr138_vgpr139
                                        ; implicit-def: $vgpr130_vgpr131
                                        ; implicit-def: $vgpr126_vgpr127
                                        ; implicit-def: $vgpr134_vgpr135
                                        ; implicit-def: $vgpr142_vgpr143
                                        ; implicit-def: $vgpr18_vgpr19
                                        ; implicit-def: $vgpr170_vgpr171
                                        ; implicit-def: $vgpr162_vgpr163
                                        ; implicit-def: $vgpr154_vgpr155
                                        ; implicit-def: $vgpr150_vgpr151
                                        ; implicit-def: $vgpr158_vgpr159
                                        ; implicit-def: $vgpr166_vgpr167
                                        ; implicit-def: $vgpr22_vgpr23
                                        ; implicit-def: $vgpr194_vgpr195
                                        ; implicit-def: $vgpr190_vgpr191
                                        ; implicit-def: $vgpr182_vgpr183
                                        ; implicit-def: $vgpr178_vgpr179
                                        ; implicit-def: $vgpr186_vgpr187
                                        ; implicit-def: $vgpr174_vgpr175
                                        ; implicit-def: $vgpr26_vgpr27
	s_wait_alu 0xfffe
	s_xor_b32 exec_lo, exec_lo, s1
	s_cbranch_execz .LBB0_13
; %bb.12:
	v_mul_u32_u24_e32 v1, 49, v1
	s_add_nc_u64 s[2:3], s[12:13], s[2:3]
	v_lshlrev_b64_e32 v[2:3], 4, v[4:5]
	s_load_b64 s[2:3], s[2:3], 0x0
	s_delay_alu instid0(VALU_DEP_2) | instskip(NEXT) | instid1(VALU_DEP_1)
	v_sub_nc_u32_e32 v200, v0, v1
	v_mad_co_u64_u32 v[0:1], null, s18, v200, 0
	v_add_nc_u32_e32 v17, 0x405, v200
	v_add_nc_u32_e32 v37, 0x62, v200
	;; [unrolled: 1-line block ×6, first 2 shown]
	v_mad_co_u64_u32 v[10:11], null, s19, v200, v[1:2]
	v_mad_co_u64_u32 v[11:12], null, s18, v17, 0
	v_add_nc_u32_e32 v13, 0x157, v200
	s_wait_kmcnt 0x0
	v_mul_lo_u32 v14, s3, v198
	v_mul_lo_u32 v15, s2, v199
	v_mad_co_u64_u32 v[8:9], null, s2, v198, 0
	v_mad_co_u64_u32 v[4:5], null, s18, v13, 0
	v_add_nc_u32_e32 v16, 0x2ae, v200
	v_add_nc_u32_e32 v253, 0xc4, v200
	;; [unrolled: 1-line block ×4, first 2 shown]
	v_add3_u32 v9, v9, v15, v14
	v_dual_mov_b32 v1, v5 :: v_dual_add_nc_u32 v250, 49, v200
	v_mad_co_u64_u32 v[6:7], null, s18, v16, 0
	v_add_nc_u32_e32 v18, 0x55c, v200
	v_mad_co_u64_u32 v[64:65], null, s18, v253, 0
	s_delay_alu instid0(VALU_DEP_4)
	v_mad_co_u64_u32 v[13:14], null, s19, v13, v[1:2]
	v_mov_b32_e32 v1, v10
	v_mov_b32_e32 v5, v7
	v_lshlrev_b64_e32 v[7:8], 4, v[8:9]
	v_mad_co_u64_u32 v[14:15], null, s18, v18, 0
	v_add_nc_u32_e32 v24, 0x188, v200
	s_delay_alu instid0(VALU_DEP_4)
	v_mad_co_u64_u32 v[9:10], null, s19, v16, v[5:6]
	v_mov_b32_e32 v10, v12
	v_add_co_u32 v12, s0, s4, v7
	v_mov_b32_e32 v5, v13
	s_wait_alu 0xf1ff
	v_add_co_ci_u32_e64 v8, s0, s5, v8, s0
	s_delay_alu instid0(VALU_DEP_3) | instskip(SKIP_2) | instid1(VALU_DEP_3)
	v_add_co_u32 v20, s0, v12, v2
	v_add_nc_u32_e32 v26, 0x2df, v200
	s_wait_alu 0xf1ff
	v_add_co_ci_u32_e64 v21, s0, v8, v3, s0
	v_lshlrev_b64_e32 v[2:3], 4, v[4:5]
	v_mad_co_u64_u32 v[4:5], null, s19, v17, v[10:11]
	v_add_nc_u32_e32 v10, 0x6b3, v200
	v_lshlrev_b64_e32 v[0:1], 4, v[0:1]
	v_add_nc_u32_e32 v28, 0x436, v200
	v_add_nc_u32_e32 v30, 0x58d, v200
	;; [unrolled: 1-line block ×3, first 2 shown]
	v_mad_co_u64_u32 v[16:17], null, s18, v10, 0
	v_mov_b32_e32 v7, v9
	v_add_co_u32 v0, s0, v20, v0
	s_wait_alu 0xf1ff
	v_add_co_ci_u32_e64 v1, s0, v21, v1, s0
	s_delay_alu instid0(VALU_DEP_3) | instskip(SKIP_4) | instid1(VALU_DEP_3)
	v_lshlrev_b64_e32 v[5:6], 4, v[6:7]
	v_dual_mov_b32 v7, v15 :: v_dual_mov_b32 v12, v4
	v_add_co_u32 v2, s0, v20, v2
	s_wait_alu 0xf1ff
	v_add_co_ci_u32_e64 v3, s0, v21, v3, s0
	v_mad_co_u64_u32 v[7:8], null, s19, v18, v[7:8]
	v_add_nc_u32_e32 v18, 0x80a, v200
	v_add_co_u32 v4, s0, v20, v5
	v_lshlrev_b64_e32 v[8:9], 4, v[11:12]
	s_wait_alu 0xf1ff
	v_add_co_ci_u32_e64 v5, s0, v21, v6, s0
	v_mov_b32_e32 v6, v17
	v_mad_co_u64_u32 v[12:13], null, s18, v18, 0
	v_mov_b32_e32 v15, v7
	v_mad_co_u64_u32 v[34:35], null, s18, v36, 0
	s_delay_alu instid0(VALU_DEP_4)
	v_mad_co_u64_u32 v[10:11], null, s19, v10, v[6:7]
	v_add_co_u32 v6, s0, v20, v8
	s_wait_alu 0xf1ff
	v_add_co_ci_u32_e64 v7, s0, v21, v9, s0
	v_lshlrev_b64_e32 v[8:9], 4, v[14:15]
	v_mad_co_u64_u32 v[14:15], null, s18, v250, 0
	v_mov_b32_e32 v11, v13
	v_dual_mov_b32 v17, v10 :: v_dual_mov_b32 v244, v37
	s_delay_alu instid0(VALU_DEP_4) | instskip(NEXT) | instid1(VALU_DEP_3)
	v_add_co_u32 v8, s0, v20, v8
	v_mad_co_u64_u32 v[10:11], null, s19, v18, v[11:12]
	v_mov_b32_e32 v11, v15
	v_mad_co_u64_u32 v[18:19], null, s18, v24, 0
	v_lshlrev_b64_e32 v[16:17], 4, v[16:17]
	s_wait_alu 0xf1ff
	v_add_co_ci_u32_e64 v9, s0, v21, v9, s0
	v_mad_co_u64_u32 v[22:23], null, s19, v250, v[11:12]
	v_mov_b32_e32 v13, v10
	s_delay_alu instid0(VALU_DEP_4)
	v_add_co_u32 v10, s0, v20, v16
	v_mov_b32_e32 v16, v19
	s_wait_alu 0xf1ff
	v_add_co_ci_u32_e64 v11, s0, v21, v17, s0
	v_mov_b32_e32 v15, v22
	v_mad_co_u64_u32 v[22:23], null, s18, v26, 0
	v_mad_co_u64_u32 v[16:17], null, s19, v24, v[16:17]
	;; [unrolled: 1-line block ×3, first 2 shown]
	v_lshlrev_b64_e32 v[12:13], 4, v[12:13]
	v_lshlrev_b64_e32 v[14:15], 4, v[14:15]
	v_dual_mov_b32 v17, v23 :: v_dual_add_nc_u32 v252, 0x93, v200
	v_dual_mov_b32 v19, v16 :: v_dual_add_nc_u32 v70, 0x372, v200
	s_delay_alu instid0(VALU_DEP_4) | instskip(NEXT) | instid1(VALU_DEP_3)
	v_add_co_u32 v12, s0, v20, v12
	v_mad_co_u64_u32 v[16:17], null, s19, v26, v[17:18]
	s_delay_alu instid0(VALU_DEP_3)
	v_lshlrev_b64_e32 v[17:18], 4, v[18:19]
	v_mov_b32_e32 v19, v25
	v_mad_co_u64_u32 v[26:27], null, s18, v30, 0
	s_wait_alu 0xf1ff
	v_add_co_ci_u32_e64 v13, s0, v21, v13, s0
	v_add_co_u32 v14, s0, v20, v14
	v_mov_b32_e32 v23, v16
	s_wait_alu 0xf1ff
	v_add_co_ci_u32_e64 v15, s0, v21, v15, s0
	v_mad_co_u64_u32 v[28:29], null, s19, v28, v[19:20]
	v_add_co_u32 v16, s0, v20, v17
	v_add_nc_u32_e32 v29, 0x6e4, v200
	s_wait_alu 0xf1ff
	v_add_co_ci_u32_e64 v17, s0, v21, v18, s0
	v_lshlrev_b64_e32 v[18:19], 4, v[22:23]
	v_mov_b32_e32 v22, v27
	v_mad_co_u64_u32 v[32:33], null, s18, v29, 0
	v_mov_b32_e32 v25, v28
	v_mad_co_u64_u32 v[50:51], null, s18, v252, 0
	s_delay_alu instid0(VALU_DEP_4) | instskip(NEXT) | instid1(VALU_DEP_3)
	v_mad_co_u64_u32 v[22:23], null, s19, v30, v[22:23]
	v_lshlrev_b64_e32 v[23:24], 4, v[24:25]
	v_mov_b32_e32 v25, v33
	v_add_co_u32 v18, s0, v20, v18
	s_wait_alu 0xf1ff
	v_add_co_ci_u32_e64 v19, s0, v21, v19, s0
	v_mov_b32_e32 v27, v22
	v_mad_co_u64_u32 v[30:31], null, s19, v29, v[25:26]
	v_add_co_u32 v28, s0, v20, v23
	s_delay_alu instid0(VALU_DEP_3) | instskip(SKIP_4) | instid1(VALU_DEP_4)
	v_lshlrev_b64_e32 v[22:23], 4, v[26:27]
	v_mad_co_u64_u32 v[25:26], null, s18, v37, 0
	s_wait_alu 0xf1ff
	v_add_co_ci_u32_e64 v29, s0, v21, v24, s0
	v_dual_mov_b32 v24, v35 :: v_dual_mov_b32 v33, v30
	v_add_co_u32 v30, s0, v20, v22
	s_wait_alu 0xf1ff
	v_add_co_ci_u32_e64 v31, s0, v21, v23, s0
	s_delay_alu instid0(VALU_DEP_3) | instskip(SKIP_4) | instid1(VALU_DEP_4)
	v_mad_co_u64_u32 v[35:36], null, s19, v36, v[24:25]
	v_add_nc_u32_e32 v36, 0x1b9, v200
	v_lshlrev_b64_e32 v[22:23], 4, v[32:33]
	v_dual_mov_b32 v24, v26 :: v_dual_add_nc_u32 v255, 0xf5, v200
	v_add_nc_u32_e32 v79, 0x930, v200
	v_mad_co_u64_u32 v[38:39], null, s18, v36, 0
	s_delay_alu instid0(VALU_DEP_3)
	v_mad_co_u64_u32 v[26:27], null, s19, v37, v[24:25]
	v_add_co_u32 v32, s0, v20, v22
	v_add_nc_u32_e32 v27, 0x310, v200
	s_wait_alu 0xf1ff
	v_add_co_ci_u32_e64 v33, s0, v21, v23, s0
	v_lshlrev_b64_e32 v[22:23], 4, v[34:35]
	v_mov_b32_e32 v24, v39
	v_mad_co_u64_u32 v[40:41], null, s18, v27, 0
	v_mad_co_u64_u32 v[82:83], null, s18, v79, 0
	s_delay_alu instid0(VALU_DEP_4) | instskip(NEXT) | instid1(VALU_DEP_4)
	v_add_co_u32 v34, s0, v20, v22
	v_mad_co_u64_u32 v[36:37], null, s19, v36, v[24:25]
	s_wait_alu 0xf1ff
	v_add_co_ci_u32_e64 v35, s0, v21, v23, s0
	v_lshlrev_b64_e32 v[22:23], 4, v[25:26]
	v_mad_co_u64_u32 v[25:26], null, s18, v43, 0
	s_delay_alu instid0(VALU_DEP_4) | instskip(NEXT) | instid1(VALU_DEP_3)
	v_dual_mov_b32 v24, v41 :: v_dual_mov_b32 v39, v36
	v_add_co_u32 v36, s0, v20, v22
	s_wait_alu 0xf1ff
	s_delay_alu instid0(VALU_DEP_4) | instskip(NEXT) | instid1(VALU_DEP_3)
	v_add_co_ci_u32_e64 v37, s0, v21, v23, s0
	v_mad_co_u64_u32 v[41:42], null, s19, v27, v[24:25]
	v_add_nc_u32_e32 v42, 0x5be, v200
	v_lshlrev_b64_e32 v[22:23], 4, v[38:39]
	v_mov_b32_e32 v24, v26
	s_delay_alu instid0(VALU_DEP_3) | instskip(NEXT) | instid1(VALU_DEP_2)
	v_mad_co_u64_u32 v[44:45], null, s18, v42, 0
	v_mad_co_u64_u32 v[26:27], null, s19, v43, v[24:25]
	s_delay_alu instid0(VALU_DEP_4)
	v_add_co_u32 v38, s0, v20, v22
	v_add_nc_u32_e32 v27, 0x715, v200
	s_wait_alu 0xf1ff
	v_add_co_ci_u32_e64 v39, s0, v21, v23, s0
	v_mov_b32_e32 v24, v45
	v_lshlrev_b64_e32 v[22:23], 4, v[40:41]
	v_mad_co_u64_u32 v[46:47], null, s18, v27, 0
	s_delay_alu instid0(VALU_DEP_3) | instskip(NEXT) | instid1(VALU_DEP_3)
	v_mad_co_u64_u32 v[42:43], null, s19, v42, v[24:25]
	v_add_co_u32 v40, s0, v20, v22
	s_wait_alu 0xf1ff
	s_delay_alu instid0(VALU_DEP_4) | instskip(SKIP_3) | instid1(VALU_DEP_3)
	v_add_co_ci_u32_e64 v41, s0, v21, v23, s0
	v_lshlrev_b64_e32 v[22:23], 4, v[25:26]
	v_mad_co_u64_u32 v[25:26], null, s18, v49, 0
	v_dual_mov_b32 v24, v47 :: v_dual_mov_b32 v45, v42
	v_add_co_u32 v42, s0, v20, v22
	s_wait_alu 0xf1ff
	s_delay_alu instid0(VALU_DEP_4) | instskip(NEXT) | instid1(VALU_DEP_3)
	v_add_co_ci_u32_e64 v43, s0, v21, v23, s0
	v_mad_co_u64_u32 v[47:48], null, s19, v27, v[24:25]
	v_lshlrev_b64_e32 v[22:23], 4, v[44:45]
	v_mov_b32_e32 v24, v26
	s_delay_alu instid0(VALU_DEP_2) | instskip(NEXT) | instid1(VALU_DEP_2)
	v_add_co_u32 v44, s0, v20, v22
	v_mad_co_u64_u32 v[26:27], null, s19, v49, v[24:25]
	s_wait_alu 0xf1ff
	s_delay_alu instid0(VALU_DEP_4) | instskip(SKIP_2) | instid1(VALU_DEP_2)
	v_add_co_ci_u32_e64 v45, s0, v21, v23, s0
	v_lshlrev_b64_e32 v[22:23], 4, v[46:47]
	v_mov_b32_e32 v24, v51
	v_add_co_u32 v46, s0, v20, v22
	s_delay_alu instid0(VALU_DEP_2) | instskip(SKIP_1) | instid1(VALU_DEP_4)
	v_mad_co_u64_u32 v[48:49], null, s19, v252, v[24:25]
	s_wait_alu 0xf1ff
	v_add_co_ci_u32_e64 v47, s0, v21, v23, s0
	v_lshlrev_b64_e32 v[22:23], 4, v[25:26]
	v_mad_co_u64_u32 v[25:26], null, s18, v55, 0
	v_add_nc_u32_e32 v27, 0x1ea, v200
	s_delay_alu instid0(VALU_DEP_1) | instskip(NEXT) | instid1(VALU_DEP_1)
	v_mad_co_u64_u32 v[52:53], null, s18, v27, 0
	v_mov_b32_e32 v24, v53
	s_delay_alu instid0(VALU_DEP_1) | instskip(SKIP_2) | instid1(VALU_DEP_2)
	v_mad_co_u64_u32 v[53:54], null, s19, v27, v[24:25]
	v_mov_b32_e32 v24, v26
	v_add_nc_u32_e32 v54, 0x498, v200
	v_mad_co_u64_u32 v[26:27], null, s19, v55, v[24:25]
	s_delay_alu instid0(VALU_DEP_2) | instskip(SKIP_1) | instid1(VALU_DEP_1)
	v_mad_co_u64_u32 v[56:57], null, s18, v54, 0
	v_add_nc_u32_e32 v27, 0x5ef, v200
	v_mad_co_u64_u32 v[58:59], null, s18, v27, 0
	s_delay_alu instid0(VALU_DEP_3) | instskip(SKIP_3) | instid1(VALU_DEP_3)
	v_dual_mov_b32 v51, v48 :: v_dual_mov_b32 v24, v57
	v_add_co_u32 v48, s0, v20, v22
	s_wait_alu 0xf1ff
	v_add_co_ci_u32_e64 v49, s0, v21, v23, s0
	v_mad_co_u64_u32 v[54:55], null, s19, v54, v[24:25]
	v_mov_b32_e32 v24, v59
	v_lshlrev_b64_e32 v[22:23], 4, v[50:51]
	s_delay_alu instid0(VALU_DEP_3) | instskip(NEXT) | instid1(VALU_DEP_2)
	v_mov_b32_e32 v57, v54
	v_add_co_u32 v50, s0, v20, v22
	s_wait_alu 0xf1ff
	s_delay_alu instid0(VALU_DEP_3) | instskip(SKIP_1) | instid1(VALU_DEP_1)
	v_add_co_ci_u32_e64 v51, s0, v21, v23, s0
	v_lshlrev_b64_e32 v[22:23], 4, v[52:53]
	v_add_co_u32 v52, s0, v20, v22
	s_wait_alu 0xf1ff
	s_delay_alu instid0(VALU_DEP_2) | instskip(SKIP_2) | instid1(VALU_DEP_2)
	v_add_co_ci_u32_e64 v53, s0, v21, v23, s0
	v_lshlrev_b64_e32 v[22:23], 4, v[25:26]
	v_mad_co_u64_u32 v[25:26], null, s18, v61, 0
	v_add_co_u32 v54, s0, v20, v22
	s_wait_alu 0xf1ff
	s_delay_alu instid0(VALU_DEP_3) | instskip(NEXT) | instid1(VALU_DEP_3)
	v_add_co_ci_u32_e64 v55, s0, v21, v23, s0
	v_mad_co_u64_u32 v[59:60], null, s19, v27, v[24:25]
	v_add_nc_u32_e32 v60, 0x89d, v200
	v_lshlrev_b64_e32 v[22:23], 4, v[56:57]
	v_mov_b32_e32 v24, v26
	s_delay_alu instid0(VALU_DEP_3) | instskip(NEXT) | instid1(VALU_DEP_3)
	v_mad_co_u64_u32 v[62:63], null, s18, v60, 0
	v_add_co_u32 v56, s0, v20, v22
	s_delay_alu instid0(VALU_DEP_3) | instskip(SKIP_2) | instid1(VALU_DEP_4)
	v_mad_co_u64_u32 v[26:27], null, s19, v61, v[24:25]
	s_wait_alu 0xf1ff
	v_add_co_ci_u32_e64 v57, s0, v21, v23, s0
	v_mov_b32_e32 v24, v63
	v_lshlrev_b64_e32 v[22:23], 4, v[58:59]
	v_add_nc_u32_e32 v27, 0x21b, v200
	s_delay_alu instid0(VALU_DEP_3) | instskip(NEXT) | instid1(VALU_DEP_3)
	v_mad_co_u64_u32 v[60:61], null, s19, v60, v[24:25]
	v_add_co_u32 v58, s0, v20, v22
	s_wait_alu 0xf1ff
	s_delay_alu instid0(VALU_DEP_4) | instskip(SKIP_3) | instid1(VALU_DEP_3)
	v_add_co_ci_u32_e64 v59, s0, v21, v23, s0
	v_lshlrev_b64_e32 v[22:23], 4, v[25:26]
	v_mad_co_u64_u32 v[25:26], null, s18, v27, 0
	v_dual_mov_b32 v24, v65 :: v_dual_mov_b32 v63, v60
	v_add_co_u32 v60, s0, v20, v22
	s_wait_alu 0xf1ff
	s_delay_alu instid0(VALU_DEP_4) | instskip(NEXT) | instid1(VALU_DEP_3)
	v_add_co_ci_u32_e64 v61, s0, v21, v23, s0
	v_mad_co_u64_u32 v[65:66], null, s19, v253, v[24:25]
	v_mad_co_u64_u32 v[66:67], null, s18, v70, 0
	v_mov_b32_e32 v24, v26
	v_lshlrev_b64_e32 v[22:23], 4, v[62:63]
	s_delay_alu instid0(VALU_DEP_2) | instskip(NEXT) | instid1(VALU_DEP_4)
	v_mad_co_u64_u32 v[26:27], null, s19, v27, v[24:25]
	v_dual_mov_b32 v24, v67 :: v_dual_add_nc_u32 v27, 0x4c9, v200
	s_delay_alu instid0(VALU_DEP_3) | instskip(SKIP_1) | instid1(VALU_DEP_4)
	v_add_co_u32 v62, s0, v20, v22
	s_wait_alu 0xf1ff
	v_add_co_ci_u32_e64 v63, s0, v21, v23, s0
	v_lshlrev_b64_e32 v[22:23], 4, v[64:65]
	v_mad_co_u64_u32 v[70:71], null, s19, v70, v[24:25]
	v_mad_co_u64_u32 v[68:69], null, s18, v27, 0
	v_add_nc_u32_e32 v72, 0x620, v200
	s_delay_alu instid0(VALU_DEP_4)
	v_add_co_u32 v64, s0, v20, v22
	s_wait_alu 0xf1ff
	v_add_co_ci_u32_e64 v65, s0, v21, v23, s0
	v_mov_b32_e32 v67, v70
	v_lshlrev_b64_e32 v[22:23], 4, v[25:26]
	v_mad_co_u64_u32 v[25:26], null, s18, v72, 0
	v_mov_b32_e32 v24, v69
	s_delay_alu instid0(VALU_DEP_1) | instskip(NEXT) | instid1(VALU_DEP_4)
	v_mad_co_u64_u32 v[69:70], null, s19, v27, v[24:25]
	v_add_co_u32 v70, s0, v20, v22
	s_wait_alu 0xf1ff
	v_add_co_ci_u32_e64 v71, s0, v21, v23, s0
	v_lshlrev_b64_e32 v[22:23], 4, v[66:67]
	v_mov_b32_e32 v24, v26
	v_mad_co_u64_u32 v[66:67], null, s18, v74, 0
	s_delay_alu instid0(VALU_DEP_2) | instskip(NEXT) | instid1(VALU_DEP_4)
	v_mad_co_u64_u32 v[26:27], null, s19, v72, v[24:25]
	v_add_co_u32 v72, s0, v20, v22
	v_add_nc_u32_e32 v27, 0x8ce, v200
	s_wait_alu 0xf1ff
	v_add_co_ci_u32_e64 v73, s0, v21, v23, s0
	v_lshlrev_b64_e32 v[22:23], 4, v[68:69]
	v_mov_b32_e32 v24, v67
	v_mad_co_u64_u32 v[68:69], null, s18, v27, 0
	s_delay_alu instid0(VALU_DEP_2) | instskip(NEXT) | instid1(VALU_DEP_4)
	v_mad_co_u64_u32 v[74:75], null, s19, v74, v[24:25]
	v_add_co_u32 v75, s0, v20, v22
	s_wait_alu 0xf1ff
	v_add_co_ci_u32_e64 v76, s0, v21, v23, s0
	v_lshlrev_b64_e32 v[22:23], 4, v[25:26]
	v_mad_co_u64_u32 v[25:26], null, s18, v255, 0
	v_dual_mov_b32 v67, v74 :: v_dual_mov_b32 v24, v69
	v_add_nc_u32_e32 v74, 0x24c, v200
	s_delay_alu instid0(VALU_DEP_4)
	v_add_co_u32 v80, s0, v20, v22
	s_wait_alu 0xf1ff
	v_add_co_ci_u32_e64 v81, s0, v21, v23, s0
	v_mad_co_u64_u32 v[77:78], null, s19, v27, v[24:25]
	v_lshlrev_b64_e32 v[22:23], 4, v[66:67]
	v_mad_co_u64_u32 v[66:67], null, s18, v74, 0
	s_delay_alu instid0(VALU_DEP_3) | instskip(NEXT) | instid1(VALU_DEP_3)
	v_dual_mov_b32 v24, v26 :: v_dual_mov_b32 v69, v77
	v_add_co_u32 v88, s0, v20, v22
	s_delay_alu instid0(VALU_DEP_2) | instskip(NEXT) | instid1(VALU_DEP_4)
	v_mad_co_u64_u32 v[26:27], null, s19, v255, v[24:25]
	v_dual_mov_b32 v24, v67 :: v_dual_add_nc_u32 v27, 0x3a3, v200
	s_wait_alu 0xf1ff
	v_add_co_ci_u32_e64 v89, s0, v21, v23, s0
	v_lshlrev_b64_e32 v[22:23], 4, v[68:69]
	s_delay_alu instid0(VALU_DEP_3) | instskip(SKIP_2) | instid1(VALU_DEP_4)
	v_mad_co_u64_u32 v[68:69], null, s18, v27, 0
	v_mad_co_u64_u32 v[77:78], null, s19, v74, v[24:25]
	v_add_nc_u32_e32 v74, 0x4fa, v200
	v_add_co_u32 v96, s0, v20, v22
	s_wait_alu 0xf1ff
	v_add_co_ci_u32_e64 v97, s0, v21, v23, s0
	v_lshlrev_b64_e32 v[22:23], 4, v[25:26]
	v_mad_co_u64_u32 v[25:26], null, s18, v74, 0
	v_dual_mov_b32 v24, v69 :: v_dual_mov_b32 v67, v77
	s_delay_alu instid0(VALU_DEP_3) | instskip(SKIP_1) | instid1(VALU_DEP_4)
	v_add_co_u32 v201, s0, v20, v22
	s_wait_alu 0xf1ff
	v_add_co_ci_u32_e64 v202, s0, v21, v23, s0
	s_delay_alu instid0(VALU_DEP_3) | instskip(SKIP_3) | instid1(VALU_DEP_3)
	v_mad_co_u64_u32 v[77:78], null, s19, v27, v[24:25]
	v_add_nc_u32_e32 v78, 0x651, v200
	v_lshlrev_b64_e32 v[22:23], 4, v[66:67]
	v_mov_b32_e32 v24, v26
	v_mad_co_u64_u32 v[66:67], null, s18, v78, 0
	v_mov_b32_e32 v69, v77
	s_delay_alu instid0(VALU_DEP_3)
	v_mad_co_u64_u32 v[26:27], null, s19, v74, v[24:25]
	v_add_co_u32 v203, s0, v20, v22
	v_add_nc_u32_e32 v27, 0x7a8, v200
	s_wait_alu 0xf1ff
	v_add_co_ci_u32_e64 v204, s0, v21, v23, s0
	v_lshlrev_b64_e32 v[22:23], 4, v[68:69]
	v_mov_b32_e32 v24, v67
	v_mad_co_u64_u32 v[68:69], null, s18, v27, 0
	v_add_nc_u32_e32 v74, 0x8ff, v200
	s_delay_alu instid0(VALU_DEP_4) | instskip(NEXT) | instid1(VALU_DEP_4)
	v_add_co_u32 v205, s0, v20, v22
	v_mad_co_u64_u32 v[77:78], null, s19, v78, v[24:25]
	s_wait_alu 0xf1ff
	v_add_co_ci_u32_e64 v206, s0, v21, v23, s0
	v_lshlrev_b64_e32 v[22:23], 4, v[25:26]
	v_mad_co_u64_u32 v[25:26], null, s18, v74, 0
	s_delay_alu instid0(VALU_DEP_4) | instskip(NEXT) | instid1(VALU_DEP_3)
	v_dual_mov_b32 v24, v69 :: v_dual_mov_b32 v67, v77
	v_add_co_u32 v207, s0, v20, v22
	s_wait_alu 0xf1ff
	s_delay_alu instid0(VALU_DEP_4) | instskip(NEXT) | instid1(VALU_DEP_3)
	v_add_co_ci_u32_e64 v208, s0, v21, v23, s0
	v_mad_co_u64_u32 v[77:78], null, s19, v27, v[24:25]
	v_lshlrev_b64_e32 v[22:23], 4, v[66:67]
	v_mov_b32_e32 v24, v26
	v_mad_co_u64_u32 v[66:67], null, s18, v254, 0
	s_delay_alu instid0(VALU_DEP_4) | instskip(NEXT) | instid1(VALU_DEP_3)
	v_mov_b32_e32 v69, v77
	v_mad_co_u64_u32 v[26:27], null, s19, v74, v[24:25]
	v_add_co_u32 v209, s0, v20, v22
	v_add_nc_u32_e32 v27, 0x27d, v200
	s_wait_alu 0xf1ff
	v_add_co_ci_u32_e64 v210, s0, v21, v23, s0
	v_lshlrev_b64_e32 v[22:23], 4, v[68:69]
	v_mov_b32_e32 v24, v67
	v_mad_co_u64_u32 v[68:69], null, s18, v27, 0
	v_add_nc_u32_e32 v74, 0x3d4, v200
	s_delay_alu instid0(VALU_DEP_4) | instskip(NEXT) | instid1(VALU_DEP_4)
	v_add_co_u32 v211, s0, v20, v22
	v_mad_co_u64_u32 v[77:78], null, s19, v254, v[24:25]
	s_wait_alu 0xf1ff
	v_add_co_ci_u32_e64 v212, s0, v21, v23, s0
	v_lshlrev_b64_e32 v[22:23], 4, v[25:26]
	v_mad_co_u64_u32 v[25:26], null, s18, v74, 0
	s_delay_alu instid0(VALU_DEP_4) | instskip(NEXT) | instid1(VALU_DEP_3)
	v_dual_mov_b32 v24, v69 :: v_dual_mov_b32 v67, v77
	v_add_co_u32 v213, s0, v20, v22
	s_wait_alu 0xf1ff
	s_delay_alu instid0(VALU_DEP_4) | instskip(NEXT) | instid1(VALU_DEP_3)
	v_add_co_ci_u32_e64 v214, s0, v21, v23, s0
	v_mad_co_u64_u32 v[77:78], null, s19, v27, v[24:25]
	v_add_nc_u32_e32 v78, 0x52b, v200
	v_lshlrev_b64_e32 v[23:24], 4, v[66:67]
	v_mov_b32_e32 v22, v26
	s_delay_alu instid0(VALU_DEP_3) | instskip(NEXT) | instid1(VALU_DEP_3)
	v_mad_co_u64_u32 v[66:67], null, s18, v78, 0
	v_add_co_u32 v215, s0, v20, v23
	s_delay_alu instid0(VALU_DEP_3)
	v_mad_co_u64_u32 v[26:27], null, s19, v74, v[22:23]
	v_mov_b32_e32 v69, v77
	s_wait_alu 0xf1ff
	v_add_co_ci_u32_e64 v216, s0, v21, v24, s0
	v_dual_mov_b32 v24, v67 :: v_dual_add_nc_u32 v27, 0x682, v200
	v_add_nc_u32_e32 v74, 0x7d9, v200
	v_lshlrev_b64_e32 v[22:23], 4, v[68:69]
	s_delay_alu instid0(VALU_DEP_3) | instskip(NEXT) | instid1(VALU_DEP_4)
	v_mad_co_u64_u32 v[67:68], null, s19, v78, v[24:25]
	v_mad_co_u64_u32 v[68:69], null, s18, v27, 0
	s_delay_alu instid0(VALU_DEP_4) | instskip(NEXT) | instid1(VALU_DEP_4)
	v_mad_co_u64_u32 v[77:78], null, s18, v74, 0
	v_add_co_u32 v217, s0, v20, v22
	s_wait_alu 0xf1ff
	v_add_co_ci_u32_e64 v218, s0, v21, v23, s0
	v_lshlrev_b64_e32 v[22:23], 4, v[25:26]
	s_delay_alu instid0(VALU_DEP_4) | instskip(SKIP_1) | instid1(VALU_DEP_3)
	v_dual_mov_b32 v24, v69 :: v_dual_mov_b32 v25, v78
	v_lshlrev_b64_e32 v[66:67], 4, v[66:67]
	v_add_co_u32 v219, s0, v20, v22
	s_delay_alu instid0(VALU_DEP_3) | instskip(SKIP_4) | instid1(VALU_DEP_3)
	v_mad_co_u64_u32 v[26:27], null, s19, v27, v[24:25]
	v_mov_b32_e32 v22, v83
	s_wait_alu 0xf1ff
	v_add_co_ci_u32_e64 v220, s0, v21, v23, s0
	v_add_co_u32 v221, s0, v20, v66
	v_mad_co_u64_u32 v[22:23], null, s19, v79, v[22:23]
	v_mad_co_u64_u32 v[24:25], null, s19, v74, v[25:26]
	v_mov_b32_e32 v69, v26
	s_wait_alu 0xf1ff
	v_add_co_ci_u32_e64 v222, s0, v21, v67, s0
	s_delay_alu instid0(VALU_DEP_4) | instskip(NEXT) | instid1(VALU_DEP_3)
	v_mov_b32_e32 v83, v22
	v_lshlrev_b64_e32 v[66:67], 4, v[68:69]
	v_mov_b32_e32 v78, v24
	s_clause 0x1
	global_load_b128 v[24:27], v[0:1], off
	global_load_b128 v[172:175], v[2:3], off
	v_lshlrev_b64_e32 v[2:3], 4, v[82:83]
	v_lshlrev_b64_e32 v[0:1], 4, v[77:78]
	v_add_co_u32 v223, s0, v20, v66
	s_wait_alu 0xf1ff
	v_add_co_ci_u32_e64 v224, s0, v21, v67, s0
	s_delay_alu instid0(VALU_DEP_3)
	v_add_co_u32 v225, s0, v20, v0
	s_wait_alu 0xf1ff
	v_add_co_ci_u32_e64 v226, s0, v21, v1, s0
	v_add_co_u32 v227, s0, v20, v2
	s_wait_alu 0xf1ff
	v_add_co_ci_u32_e64 v228, s0, v21, v3, s0
	s_clause 0x13
	global_load_b128 v[184:187], v[4:5], off
	global_load_b128 v[176:179], v[6:7], off
	;; [unrolled: 1-line block ×20, first 2 shown]
	s_wait_loadcnt 0x0
	scratch_store_b128 off, v[0:3], off offset:84 ; 16-byte Folded Spill
	s_clause 0x6
	global_load_b128 v[116:119], v[52:53], off
	global_load_b128 v[108:111], v[54:55], off
	global_load_b128 v[100:103], v[56:57], off
	global_load_b128 v[104:107], v[58:59], off
	global_load_b128 v[112:115], v[60:61], off
	global_load_b128 v[120:123], v[62:63], off
	global_load_b128 v[0:3], v[64:65], off
	s_wait_loadcnt 0x0
	scratch_store_b128 off, v[0:3], off offset:68 ; 16-byte Folded Spill
	s_clause 0x6
	global_load_b128 v[92:95], v[70:71], off
	global_load_b128 v[84:87], v[72:73], off
	global_load_b128 v[76:79], v[75:76], off
	global_load_b128 v[80:83], v[80:81], off
	global_load_b128 v[88:91], v[88:89], off
	global_load_b128 v[96:99], v[96:97], off
	global_load_b128 v[0:3], v[201:202], off
	;; [unrolled: 10-line block ×3, first 2 shown]
	s_wait_loadcnt 0x0
	scratch_store_b128 off, v[0:3], off offset:36 ; 16-byte Folded Spill
	s_clause 0x5
	global_load_b128 v[44:47], v[217:218], off
	global_load_b128 v[36:39], v[219:220], off
	;; [unrolled: 1-line block ×6, first 2 shown]
.LBB0_13:
	s_or_b32 exec_lo, exec_lo, s1
	v_add_f64_e32 v[232:233], v[192:193], v[172:173]
	v_add_f64_e64 v[236:237], v[174:175], -v[194:195]
	v_add_f64_e32 v[234:235], v[188:189], v[184:185]
	v_add_f64_e64 v[240:241], v[186:187], -v[190:191]
	v_add_f64_e64 v[242:243], v[182:183], -v[178:179]
	v_add_f64_e32 v[14:15], v[194:195], v[174:175]
	v_add_f64_e32 v[194:195], v[190:191], v[186:187]
	v_add_f64_e64 v[174:175], v[184:185], -v[188:189]
	v_add_f64_e32 v[238:239], v[180:181], v[176:177]
	v_add_f64_e32 v[190:191], v[182:183], v[178:179]
	;; [unrolled: 3-line block ×3, first 2 shown]
	v_add_f64_e64 v[176:177], v[164:165], -v[168:169]
	v_add_f64_e64 v[202:203], v[166:167], -v[170:171]
	v_add_f64_e32 v[208:209], v[160:161], v[156:157]
	v_add_f64_e32 v[184:185], v[162:163], v[158:159]
	v_add_f64_e64 v[182:183], v[156:157], -v[160:161]
	v_add_f64_e64 v[206:207], v[158:159], -v[162:163]
	v_add_f64_e32 v[212:213], v[152:153], v[148:149]
	v_add_f64_e32 v[156:157], v[154:155], v[150:151]
	;; [unrolled: 4-line block ×14, first 2 shown]
	v_add_f64_e64 v[158:159], v[56:57], -v[52:53]
	v_add_f64_e64 v[52:53], v[58:59], -v[54:55]
	s_wait_loadcnt 0x0
	v_add_f64_e32 v[54:55], v[48:49], v[44:45]
	v_add_f64_e32 v[164:165], v[50:51], v[46:47]
	v_add_f64_e64 v[162:163], v[44:45], -v[48:49]
	v_add_f64_e64 v[44:45], v[46:47], -v[50:51]
	v_add_f64_e32 v[46:47], v[40:41], v[36:37]
	v_add_f64_e32 v[150:151], v[42:43], v[38:39]
	v_add_f64_e64 v[152:153], v[36:37], -v[40:41]
	v_add_f64_e64 v[36:37], v[38:39], -v[42:43]
	v_add_f64_e32 v[38:39], v[32:33], v[28:29]
	v_add_f64_e64 v[170:171], v[32:33], -v[28:29]
	v_add_f64_e64 v[32:33], v[242:243], -v[240:241]
	;; [unrolled: 1-line block ×3, first 2 shown]
	v_add_f64_e32 v[42:43], v[234:235], v[232:233]
	s_mov_b32 s22, 0xe976ee23
	s_mov_b32 s2, 0x429ad128
	;; [unrolled: 1-line block ×4, first 2 shown]
	v_add_f64_e32 v[246:247], v[34:35], v[30:31]
	v_add_f64_e64 v[28:29], v[34:35], -v[30:31]
	v_add_f64_e32 v[30:31], v[242:243], v[240:241]
	v_add_f64_e64 v[34:35], v[236:237], -v[242:243]
	v_add_f64_e64 v[48:49], v[232:233], -v[238:239]
	;; [unrolled: 1-line block ×3, first 2 shown]
	s_mov_b32 s10, 0xb247c609
	s_mov_b32 s18, 0x37e14327
	;; [unrolled: 1-line block ×4, first 2 shown]
	s_wait_alu 0xfffe
	s_mov_b32 s12, s10
	s_mov_b32 s19, 0x3fe948f6
	;; [unrolled: 1-line block ×4, first 2 shown]
	v_add_f64_e64 v[56:57], v[234:235], -v[232:233]
	s_mov_b32 s0, 0x37c3f68c
	s_mov_b32 s20, 0xaaaaaaaa
	;; [unrolled: 1-line block ×7, first 2 shown]
	s_wait_alu 0xfffe
	s_mov_b32 s14, s4
	v_mad_u32_u24 v232, v200, 56, 0
	scratch_store_b32 off, v250, off offset:316 ; 4-byte Folded Spill
	v_lshl_add_u32 v242, v200, 3, 0
	v_mov_b32_e32 v189, v244
	v_mad_i32_i24 v201, v253, 56, 0
	v_mad_i32_i24 v118, v254, 56, 0
	v_add_f64_e64 v[192:193], v[172:173], -v[192:193]
	v_lshl_add_u32 v234, v252, 3, 0
	v_mul_f64_e32 v[32:33], s[22:23], v[32:33]
	v_mul_f64_e32 v[58:59], s[2:3], v[40:41]
	v_add_f64_e32 v[42:43], v[238:239], v[42:43]
	v_add_nc_u32_e32 v241, 0x4400, v242
	v_add_f64_e32 v[30:31], v[30:31], v[236:237]
	v_mul_f64_e32 v[48:49], s[18:19], v[48:49]
	v_fma_f64 v[40:41], v[40:41], s[2:3], -v[32:33]
	v_fma_f64 v[32:33], v[34:35], s[10:11], v[32:33]
	v_fma_f64 v[34:35], v[34:35], s[12:13], -v[58:59]
	v_add_f64_e32 v[24:25], v[24:25], v[42:43]
	v_mul_f64_e32 v[58:59], s[24:25], v[50:51]
	v_fma_f64 v[50:51], v[50:51], s[24:25], v[48:49]
	v_fma_f64 v[48:49], v[56:57], s[14:15], -v[48:49]
	v_fma_f64 v[40:41], v[30:31], s[0:1], v[40:41]
	v_fma_f64 v[32:33], v[30:31], s[0:1], v[32:33]
	;; [unrolled: 1-line block ×4, first 2 shown]
	v_fma_f64 v[56:57], v[56:57], s[4:5], -v[58:59]
	s_delay_alu instid0(VALU_DEP_2) | instskip(SKIP_1) | instid1(VALU_DEP_3)
	v_add_f64_e32 v[42:43], v[50:51], v[34:35]
	v_add_f64_e32 v[48:49], v[48:49], v[34:35]
	;; [unrolled: 1-line block ×3, first 2 shown]
	s_delay_alu instid0(VALU_DEP_3) | instskip(NEXT) | instid1(VALU_DEP_3)
	v_add_f64_e32 v[50:51], v[32:33], v[42:43]
	v_add_f64_e32 v[56:57], v[30:31], v[48:49]
	s_delay_alu instid0(VALU_DEP_3)
	v_add_f64_e64 v[58:59], v[34:35], -v[40:41]
	ds_store_2addr_b64 v232, v[24:25], v[50:51] offset1:1
	ds_store_2addr_b64 v232, v[56:57], v[58:59] offset0:2 offset1:3
	v_add_f64_e32 v[24:25], v[40:41], v[34:35]
	v_add_f64_e64 v[30:31], v[48:49], -v[30:31]
	v_add_f64_e64 v[32:33], v[42:43], -v[32:33]
	;; [unrolled: 1-line block ×6, first 2 shown]
	v_add_f64_e32 v[42:43], v[210:211], v[206:207]
	v_add_f64_e64 v[34:35], v[208:209], -v[204:205]
	ds_store_2addr_b64 v232, v[24:25], v[30:31] offset0:4 offset1:5
	ds_store_b64 v232, v[32:33] offset:48
	v_add_f64_e32 v[24:25], v[208:209], v[204:205]
	v_add_f64_e64 v[30:31], v[204:205], -v[212:213]
	v_mul_f64_e32 v[48:49], s[22:23], v[48:49]
	v_mul_f64_e32 v[58:59], s[2:3], v[50:51]
	v_add_f64_e32 v[42:43], v[42:43], v[202:203]
	v_mad_i32_i24 v202, v250, 56, 0
	v_mad_i32_i24 v203, v189, 56, 0
	v_add_f64_e32 v[24:25], v[212:213], v[24:25]
	v_mul_f64_e32 v[30:31], s[18:19], v[30:31]
	v_fma_f64 v[50:51], v[50:51], s[2:3], -v[48:49]
	v_fma_f64 v[48:49], v[56:57], s[10:11], v[48:49]
	v_fma_f64 v[56:57], v[56:57], s[12:13], -v[58:59]
	v_mul_f64_e32 v[58:59], s[24:25], v[40:41]
	v_add_f64_e32 v[20:21], v[20:21], v[24:25]
	v_fma_f64 v[40:41], v[40:41], s[24:25], v[30:31]
	v_fma_f64 v[30:31], v[34:35], s[14:15], -v[30:31]
	s_delay_alu instid0(VALU_DEP_4) | instskip(SKIP_4) | instid1(VALU_DEP_1)
	v_fma_f64 v[58:59], v[34:35], s[4:5], -v[58:59]
	v_fma_f64 v[34:35], v[42:43], s[0:1], v[48:49]
	v_fma_f64 v[48:49], v[42:43], s[0:1], v[50:51]
	;; [unrolled: 1-line block ×4, first 2 shown]
	v_add_f64_e32 v[40:41], v[40:41], v[24:25]
	v_add_f64_e32 v[50:51], v[58:59], v[24:25]
	;; [unrolled: 1-line block ×3, first 2 shown]
	s_delay_alu instid0(VALU_DEP_3) | instskip(NEXT) | instid1(VALU_DEP_3)
	v_add_f64_e32 v[30:31], v[34:35], v[40:41]
	v_add_f64_e64 v[32:33], v[50:51], -v[48:49]
	s_delay_alu instid0(VALU_DEP_3)
	v_add_f64_e32 v[56:57], v[42:43], v[24:25]
	ds_store_2addr_b64 v202, v[20:21], v[30:31] offset1:1
	ds_store_2addr_b64 v202, v[56:57], v[32:33] offset0:2 offset1:3
	v_add_f64_e32 v[20:21], v[48:49], v[50:51]
	v_add_f64_e64 v[24:25], v[24:25], -v[42:43]
	v_add_f64_e64 v[30:31], v[40:41], -v[34:35]
	;; [unrolled: 1-line block ×6, first 2 shown]
	v_add_f64_e32 v[40:41], v[222:223], v[218:219]
	v_add_f64_e64 v[32:33], v[220:221], -v[216:217]
	ds_store_2addr_b64 v202, v[20:21], v[24:25] offset0:4 offset1:5
	ds_store_b64 v202, v[30:31] offset:48
	v_add_f64_e32 v[20:21], v[220:221], v[216:217]
	v_add_f64_e64 v[24:25], v[216:217], -v[224:225]
	v_mul_f64_e32 v[42:43], s[22:23], v[42:43]
	v_mul_f64_e32 v[56:57], s[2:3], v[48:49]
	v_add_f64_e32 v[40:41], v[40:41], v[214:215]
	v_add_f64_e32 v[20:21], v[224:225], v[20:21]
	v_mul_f64_e32 v[24:25], s[18:19], v[24:25]
	v_fma_f64 v[48:49], v[48:49], s[2:3], -v[42:43]
	v_fma_f64 v[42:43], v[50:51], s[10:11], v[42:43]
	v_fma_f64 v[50:51], v[50:51], s[12:13], -v[56:57]
	v_mul_f64_e32 v[56:57], s[24:25], v[34:35]
	v_add_f64_e32 v[16:17], v[16:17], v[20:21]
	v_fma_f64 v[34:35], v[34:35], s[24:25], v[24:25]
	v_fma_f64 v[24:25], v[32:33], s[14:15], -v[24:25]
	s_delay_alu instid0(VALU_DEP_4) | instskip(SKIP_4) | instid1(VALU_DEP_1)
	v_fma_f64 v[56:57], v[32:33], s[4:5], -v[56:57]
	v_fma_f64 v[32:33], v[40:41], s[0:1], v[42:43]
	v_fma_f64 v[42:43], v[40:41], s[0:1], v[48:49]
	;; [unrolled: 1-line block ×4, first 2 shown]
	v_add_f64_e32 v[34:35], v[34:35], v[20:21]
	v_add_f64_e32 v[48:49], v[56:57], v[20:21]
	;; [unrolled: 1-line block ×3, first 2 shown]
	s_delay_alu instid0(VALU_DEP_3) | instskip(NEXT) | instid1(VALU_DEP_3)
	v_add_f64_e32 v[24:25], v[32:33], v[34:35]
	v_add_f64_e64 v[30:31], v[48:49], -v[42:43]
	s_delay_alu instid0(VALU_DEP_3)
	v_add_f64_e32 v[50:51], v[40:41], v[20:21]
	ds_store_2addr_b64 v203, v[16:17], v[24:25] offset1:1
	ds_store_2addr_b64 v203, v[50:51], v[30:31] offset0:2 offset1:3
	v_add_f64_e32 v[16:17], v[42:43], v[48:49]
	v_add_f64_e64 v[20:21], v[20:21], -v[40:41]
	v_add_f64_e64 v[24:25], v[34:35], -v[32:33]
	v_add_f64_e32 v[34:35], v[100:101], v[108:109]
	v_add_f64_e64 v[30:31], v[230:231], -v[228:229]
	v_add_f64_e64 v[32:33], v[110:111], -v[230:231]
	;; [unrolled: 1-line block ×5, first 2 shown]
	ds_store_2addr_b64 v203, v[16:17], v[20:21] offset0:4 offset1:5
	ds_store_b64 v203, v[24:25] offset:48
	v_add_f64_e32 v[16:17], v[230:231], v[228:229]
	v_add_f64_e64 v[20:21], v[228:229], -v[110:111]
	v_add_f64_e32 v[34:35], v[34:35], v[226:227]
	scratch_load_b128 v[227:230], off, off offset:84 th:TH_LOAD_LU ; 16-byte Folded Reload
	v_mul_f64_e32 v[50:51], s[2:3], v[42:43]
	v_mul_f64_e32 v[40:41], s[22:23], v[40:41]
	v_add_f64_e32 v[16:17], v[110:111], v[16:17]
	v_mul_f64_e32 v[20:21], s[18:19], v[20:21]
	v_mad_i32_i24 v111, v252, 56, 0
	s_delay_alu instid0(VALU_DEP_4)
	v_fma_f64 v[42:43], v[42:43], s[2:3], -v[40:41]
	v_fma_f64 v[40:41], v[48:49], s[10:11], v[40:41]
	v_fma_f64 v[48:49], v[48:49], s[12:13], -v[50:51]
	v_mul_f64_e32 v[50:51], s[24:25], v[32:33]
	v_fma_f64 v[32:33], v[32:33], s[24:25], v[20:21]
	v_fma_f64 v[20:21], v[30:31], s[14:15], -v[20:21]
	s_delay_alu instid0(VALU_DEP_3)
	v_fma_f64 v[50:51], v[30:31], s[4:5], -v[50:51]
	v_fma_f64 v[30:31], v[34:35], s[0:1], v[40:41]
	v_fma_f64 v[40:41], v[34:35], s[0:1], v[42:43]
	;; [unrolled: 1-line block ×3, first 2 shown]
	s_wait_loadcnt 0x0
	v_add_f64_e32 v[12:13], v[227:228], v[16:17]
	s_delay_alu instid0(VALU_DEP_1) | instskip(NEXT) | instid1(VALU_DEP_1)
	v_fma_f64 v[16:17], v[16:17], s[20:21], v[12:13]
	v_add_f64_e32 v[32:33], v[32:33], v[16:17]
	v_add_f64_e32 v[42:43], v[50:51], v[16:17]
	;; [unrolled: 1-line block ×3, first 2 shown]
	s_delay_alu instid0(VALU_DEP_3) | instskip(NEXT) | instid1(VALU_DEP_3)
	v_add_f64_e32 v[20:21], v[30:31], v[32:33]
	v_add_f64_e64 v[24:25], v[42:43], -v[40:41]
	s_delay_alu instid0(VALU_DEP_3)
	v_add_f64_e32 v[48:49], v[34:35], v[16:17]
	ds_store_2addr_b64 v111, v[12:13], v[20:21] offset1:1
	ds_store_2addr_b64 v111, v[48:49], v[24:25] offset0:2 offset1:3
	scratch_load_b128 v[225:228], off, off offset:68 th:TH_LOAD_LU ; 16-byte Folded Reload
	v_add_f64_e32 v[12:13], v[40:41], v[42:43]
	v_add_f64_e64 v[16:17], v[16:17], -v[34:35]
	v_add_f64_e64 v[20:21], v[32:33], -v[30:31]
	;; [unrolled: 1-line block ×6, first 2 shown]
	v_add_f64_e32 v[32:33], v[76:77], v[84:85]
	v_add_f64_e64 v[40:41], v[92:93], -v[76:77]
	ds_store_2addr_b64 v111, v[12:13], v[16:17] offset0:4 offset1:5
	ds_store_b64 v111, v[20:21] offset:48
	v_add_f64_e32 v[12:13], v[94:95], v[102:103]
	v_add_f64_e64 v[16:17], v[102:103], -v[86:87]
	v_mul_f64_e32 v[48:49], s[24:25], v[30:31]
	v_add_f64_e32 v[32:33], v[32:33], v[92:93]
	s_delay_alu instid0(VALU_DEP_4) | instskip(NEXT) | instid1(VALU_DEP_4)
	v_add_f64_e32 v[12:13], v[86:87], v[12:13]
	v_mul_f64_e32 v[16:17], s[18:19], v[16:17]
	s_delay_alu instid0(VALU_DEP_4) | instskip(NEXT) | instid1(VALU_DEP_2)
	v_fma_f64 v[48:49], v[24:25], s[4:5], -v[48:49]
	v_fma_f64 v[30:31], v[30:31], s[24:25], v[16:17]
	v_fma_f64 v[16:17], v[24:25], s[14:15], -v[16:17]
	v_mul_f64_e32 v[24:25], s[22:23], v[34:35]
	v_mul_f64_e32 v[34:35], s[2:3], v[42:43]
	s_delay_alu instid0(VALU_DEP_2) | instskip(SKIP_1) | instid1(VALU_DEP_3)
	v_fma_f64 v[42:43], v[42:43], s[2:3], -v[24:25]
	v_fma_f64 v[24:25], v[40:41], s[10:11], v[24:25]
	v_fma_f64 v[34:35], v[40:41], s[12:13], -v[34:35]
	s_wait_loadcnt 0x0
	v_add_f64_e32 v[8:9], v[225:226], v[12:13]
	s_delay_alu instid0(VALU_DEP_1) | instskip(NEXT) | instid1(VALU_DEP_1)
	v_fma_f64 v[12:13], v[12:13], s[20:21], v[8:9]
	v_add_f64_e32 v[30:31], v[30:31], v[12:13]
	v_add_f64_e32 v[40:41], v[48:49], v[12:13]
	;; [unrolled: 1-line block ×3, first 2 shown]
	v_fma_f64 v[16:17], v[32:33], s[0:1], v[24:25]
	v_fma_f64 v[24:25], v[32:33], s[0:1], v[42:43]
	;; [unrolled: 1-line block ×3, first 2 shown]
	s_delay_alu instid0(VALU_DEP_3) | instskip(NEXT) | instid1(VALU_DEP_3)
	v_add_f64_e32 v[20:21], v[16:17], v[30:31]
	v_add_f64_e64 v[34:35], v[40:41], -v[24:25]
	s_delay_alu instid0(VALU_DEP_3)
	v_add_f64_e32 v[42:43], v[32:33], v[12:13]
	ds_store_2addr_b64 v201, v[8:9], v[20:21] offset1:1
	ds_store_2addr_b64 v201, v[42:43], v[34:35] offset0:2 offset1:3
	scratch_load_b128 v[216:219], off, off offset:52 th:TH_LOAD_LU ; 16-byte Folded Reload
	v_add_f64_e32 v[8:9], v[24:25], v[40:41]
	v_add_f64_e64 v[12:13], v[12:13], -v[32:33]
	v_add_f64_e64 v[16:17], v[30:31], -v[16:17]
	;; [unrolled: 1-line block ×7, first 2 shown]
	v_add_f64_e32 v[30:31], v[52:53], v[60:61]
	ds_store_2addr_b64 v201, v[8:9], v[12:13] offset0:4 offset1:5
	ds_store_b64 v201, v[16:17] offset:48
	v_add_f64_e64 v[12:13], v[78:79], -v[62:63]
	v_add_f64_e32 v[8:9], v[70:71], v[78:79]
	v_mul_f64_e32 v[42:43], s[24:25], v[20:21]
	v_add_f64_e32 v[30:31], v[30:31], v[68:69]
	s_delay_alu instid0(VALU_DEP_4) | instskip(NEXT) | instid1(VALU_DEP_4)
	v_mul_f64_e32 v[12:13], s[18:19], v[12:13]
	v_add_f64_e32 v[8:9], v[62:63], v[8:9]
	s_delay_alu instid0(VALU_DEP_4) | instskip(NEXT) | instid1(VALU_DEP_3)
	v_fma_f64 v[42:43], v[24:25], s[4:5], -v[42:43]
	v_fma_f64 v[20:21], v[20:21], s[24:25], v[12:13]
	v_fma_f64 v[12:13], v[24:25], s[14:15], -v[12:13]
	v_mul_f64_e32 v[24:25], s[22:23], v[32:33]
	v_mul_f64_e32 v[32:33], s[2:3], v[40:41]
	s_delay_alu instid0(VALU_DEP_2) | instskip(SKIP_1) | instid1(VALU_DEP_3)
	v_fma_f64 v[40:41], v[40:41], s[2:3], -v[24:25]
	v_fma_f64 v[24:25], v[34:35], s[10:11], v[24:25]
	v_fma_f64 v[32:33], v[34:35], s[12:13], -v[32:33]
	s_delay_alu instid0(VALU_DEP_3) | instskip(NEXT) | instid1(VALU_DEP_3)
	v_fma_f64 v[40:41], v[30:31], s[0:1], v[40:41]
	v_fma_f64 v[24:25], v[30:31], s[0:1], v[24:25]
	s_delay_alu instid0(VALU_DEP_3) | instskip(SKIP_2) | instid1(VALU_DEP_1)
	v_fma_f64 v[30:31], v[30:31], s[0:1], v[32:33]
	s_wait_loadcnt 0x0
	v_add_f64_e32 v[34:35], v[216:217], v[8:9]
	v_fma_f64 v[4:5], v[8:9], s[20:21], v[34:35]
	s_delay_alu instid0(VALU_DEP_1) | instskip(SKIP_3) | instid1(VALU_DEP_4)
	v_add_f64_e32 v[8:9], v[20:21], v[4:5]
	v_add_f64_e32 v[20:21], v[42:43], v[4:5]
	;; [unrolled: 1-line block ×3, first 2 shown]
	v_mad_i32_i24 v4, v255, 56, 0
	v_add_f64_e32 v[16:17], v[24:25], v[8:9]
	s_delay_alu instid0(VALU_DEP_4) | instskip(NEXT) | instid1(VALU_DEP_4)
	v_add_f64_e64 v[32:33], v[20:21], -v[40:41]
	v_add_f64_e32 v[42:43], v[30:31], v[12:13]
	ds_store_2addr_b64 v4, v[34:35], v[16:17] offset1:1
	ds_store_2addr_b64 v4, v[42:43], v[32:33] offset0:2 offset1:3
	scratch_load_b128 v[214:217], off, off offset:36 th:TH_LOAD_LU ; 16-byte Folded Reload
	v_add_f64_e32 v[16:17], v[40:41], v[20:21]
	v_add_f64_e64 v[12:13], v[12:13], -v[30:31]
	v_add_f64_e64 v[8:9], v[8:9], -v[24:25]
	;; [unrolled: 1-line block ×4, first 2 shown]
	v_add_f64_e32 v[30:31], v[28:29], v[36:37]
	v_add_f64_e64 v[32:33], v[28:29], -v[36:37]
	v_add_f64_e64 v[34:35], v[36:37], -v[44:45]
	;; [unrolled: 1-line block ×3, first 2 shown]
	ds_store_2addr_b64 v4, v[16:17], v[12:13] offset0:4 offset1:5
	ds_store_b64 v4, v[8:9] offset:48
	v_add_f64_e32 v[12:13], v[46:47], v[54:55]
	v_add_f64_e64 v[16:17], v[54:55], -v[38:39]
	v_mul_f64_e32 v[36:37], s[24:25], v[20:21]
	v_add_f64_e32 v[30:31], v[30:31], v[44:45]
	s_delay_alu instid0(VALU_DEP_4) | instskip(NEXT) | instid1(VALU_DEP_4)
	v_add_f64_e32 v[12:13], v[38:39], v[12:13]
	v_mul_f64_e32 v[16:17], s[18:19], v[16:17]
	s_delay_alu instid0(VALU_DEP_4) | instskip(SKIP_1) | instid1(VALU_DEP_1)
	v_fma_f64 v[36:37], v[24:25], s[4:5], -v[36:37]
	v_add_nc_u32_e32 v38, 0x1000, v242
	v_mov_b32_e32 v223, v38
	s_delay_alu instid0(VALU_DEP_4) | instskip(SKIP_3) | instid1(VALU_DEP_2)
	v_fma_f64 v[20:21], v[20:21], s[24:25], v[16:17]
	v_fma_f64 v[16:17], v[24:25], s[14:15], -v[16:17]
	v_mul_f64_e32 v[24:25], s[22:23], v[32:33]
	v_mul_f64_e32 v[32:33], s[2:3], v[34:35]
	v_fma_f64 v[34:35], v[34:35], s[2:3], -v[24:25]
	v_fma_f64 v[24:25], v[28:29], s[10:11], v[24:25]
	s_delay_alu instid0(VALU_DEP_3) | instskip(NEXT) | instid1(VALU_DEP_1)
	v_fma_f64 v[28:29], v[28:29], s[12:13], -v[32:33]
	v_fma_f64 v[28:29], v[30:31], s[0:1], v[28:29]
	s_wait_loadcnt 0x0
	v_add_f64_e32 v[0:1], v[214:215], v[12:13]
	s_delay_alu instid0(VALU_DEP_1) | instskip(NEXT) | instid1(VALU_DEP_1)
	v_fma_f64 v[12:13], v[12:13], s[20:21], v[0:1]
	v_add_f64_e32 v[20:21], v[20:21], v[12:13]
	v_add_f64_e32 v[32:33], v[36:37], v[12:13]
	;; [unrolled: 1-line block ×3, first 2 shown]
	v_fma_f64 v[16:17], v[30:31], s[0:1], v[24:25]
	v_fma_f64 v[24:25], v[30:31], s[0:1], v[34:35]
	s_delay_alu instid0(VALU_DEP_3) | instskip(NEXT) | instid1(VALU_DEP_3)
	v_add_f64_e32 v[34:35], v[28:29], v[12:13]
	v_add_f64_e32 v[8:9], v[16:17], v[20:21]
	s_delay_alu instid0(VALU_DEP_3)
	v_add_f64_e64 v[30:31], v[32:33], -v[24:25]
	ds_store_2addr_b64 v118, v[0:1], v[8:9] offset1:1
	ds_store_2addr_b64 v118, v[34:35], v[30:31] offset0:2 offset1:3
	v_add_f64_e32 v[0:1], v[24:25], v[32:33]
	v_add_f64_e64 v[8:9], v[12:13], -v[28:29]
	v_add_f64_e64 v[12:13], v[20:21], -v[16:17]
	;; [unrolled: 1-line block ×5, first 2 shown]
	v_add_f64_e32 v[20:21], v[180:181], v[174:175]
	s_load_b64 s[26:27], s[26:27], 0x0
	ds_store_2addr_b64 v118, v[0:1], v[8:9] offset0:4 offset1:5
	ds_store_b64 v118, v[12:13] offset:48
	v_add_f64_e32 v[0:1], v[194:195], v[14:15]
	v_add_f64_e64 v[8:9], v[14:15], -v[190:191]
	v_add_f64_e64 v[12:13], v[190:191], -v[194:195]
	v_add_f64_e32 v[20:21], v[20:21], v[192:193]
	global_wb scope:SCOPE_SE
	s_wait_storecnt_dscnt 0x0
	s_wait_kmcnt 0x0
	s_barrier_signal -1
	s_barrier_wait -1
	global_inv scope:SCOPE_SE
	v_add_nc_u32_e32 v15, 0x1800, v242
	s_delay_alu instid0(VALU_DEP_1) | instskip(SKIP_3) | instid1(VALU_DEP_3)
	v_mov_b32_e32 v172, v15
	v_add_f64_e32 v[0:1], v[190:191], v[0:1]
	v_mul_f64_e32 v[8:9], s[18:19], v[8:9]
	v_mul_f64_e32 v[30:31], s[24:25], v[12:13]
	v_add_f64_e32 v[126:127], v[26:27], v[0:1]
	v_add_f64_e64 v[26:27], v[192:193], -v[180:181]
	s_delay_alu instid0(VALU_DEP_4) | instskip(NEXT) | instid1(VALU_DEP_4)
	v_fma_f64 v[12:13], v[12:13], s[24:25], v[8:9]
	v_fma_f64 v[30:31], v[16:17], s[4:5], -v[30:31]
	v_fma_f64 v[8:9], v[16:17], s[14:15], -v[8:9]
	v_mul_f64_e32 v[16:17], s[22:23], v[24:25]
	v_mul_f64_e32 v[24:25], s[2:3], v[28:29]
	v_fma_f64 v[0:1], v[0:1], s[20:21], v[126:127]
	s_delay_alu instid0(VALU_DEP_2) | instskip(NEXT) | instid1(VALU_DEP_4)
	v_fma_f64 v[24:25], v[26:27], s[12:13], -v[24:25]
	v_fma_f64 v[26:27], v[26:27], s[10:11], v[16:17]
	v_fma_f64 v[16:17], v[28:29], s[2:3], -v[16:17]
	v_add_nc_u32_e32 v29, 0x2c00, v242
	s_delay_alu instid0(VALU_DEP_1)
	v_mov_b32_e32 v221, v29
	v_add_f64_e32 v[174:175], v[12:13], v[0:1]
	v_add_f64_e32 v[180:181], v[30:31], v[0:1]
	;; [unrolled: 1-line block ×3, first 2 shown]
	v_lshl_add_u32 v12, v250, 3, 0
	v_add_nc_u32_e32 v30, 0x3c00, v242
	v_add_nc_u32_e32 v31, 0x3000, v242
	v_fma_f64 v[192:193], v[20:21], s[0:1], v[24:25]
	v_fma_f64 v[190:191], v[20:21], s[0:1], v[26:27]
	v_lshl_add_u32 v24, v253, 3, 0
	v_lshl_add_u32 v25, v255, 3, 0
	v_mad_i32_i24 v26, 0xffffffd0, v254, v118
	v_fma_f64 v[194:195], v[20:21], s[0:1], v[16:17]
	v_lshl_add_u32 v16, v189, 3, 0
	s_clause 0x2
	scratch_store_b32 off, v24, off
	scratch_store_b32 off, v25, off offset:16
	scratch_store_b32 off, v26, off offset:32
	v_dual_mov_b32 v251, v16 :: v_dual_add_nc_u32 v28, 0x1400, v242
	ds_load_b64 v[20:21], v242
	ds_load_b64 v[8:9], v12
	v_mov_b32_e32 v173, v12
	ds_load_b64 v[12:13], v16
	ds_load_b64 v[33:34], v234
	;; [unrolled: 1-line block ×3, first 2 shown]
	v_dual_mov_b32 v220, v30 :: v_dual_add_nc_u32 v27, 0x800, v242
	v_add_nc_u32_e32 v36, 0x4000, v242
	v_dual_mov_b32 v109, v28 :: v_dual_add_nc_u32 v14, 0x3800, v242
	s_delay_alu instid0(VALU_DEP_1)
	v_dual_mov_b32 v224, v31 :: v_dual_mov_b32 v167, v14
	s_wait_dscnt 0x0
	scratch_store_b64 off, v[16:17], off offset:168 ; 8-byte Folded Spill
	ds_load_b64 v[16:17], v25
	v_add_f64_e64 v[206:207], v[0:1], -v[192:193]
	v_add_f64_e64 v[204:205], v[174:175], -v[190:191]
	scratch_store_b64 off, v[8:9], off offset:184 ; 8-byte Folded Spill
	v_add_f64_e32 v[0:1], v[192:193], v[0:1]
	v_add_f64_e32 v[174:175], v[190:191], v[174:175]
	;; [unrolled: 1-line block ×3, first 2 shown]
	s_wait_dscnt 0x0
	scratch_store_b64 off, v[16:17], off offset:160 ; 8-byte Folded Spill
	ds_load_b64 v[16:17], v26
	scratch_store_b64 off, v[33:34], off offset:176 ; 8-byte Folded Spill
	s_wait_dscnt 0x0
	scratch_store_b64 off, v[16:17], off offset:152 ; 8-byte Folded Spill
	v_mov_b32_e32 v17, v27
	s_delay_alu instid0(VALU_DEP_1) | instskip(NEXT) | instid1(VALU_DEP_1)
	v_dual_mov_b32 v108, v17 :: v_dual_add_nc_u32 v37, 0x2800, v242
	v_dual_mov_b32 v16, v37 :: v_dual_add_nc_u32 v243, 0x2000, v242
	ds_load_2addr_b64 v[104:107], v27 offset0:87 offset1:136
	ds_load_2addr_b64 v[40:43], v38 offset0:125 offset1:174
	;; [unrolled: 1-line block ×15, first 2 shown]
	v_mov_b32_e32 v17, v36
	ds_load_2addr_b64 v[56:59], v38 offset0:27 offset1:76
	ds_load_2addr_b64 v[52:55], v243 offset0:201 offset1:250
	;; [unrolled: 1-line block ×6, first 2 shown]
	global_wb scope:SCOPE_SE
	s_wait_storecnt_dscnt 0x0
	s_barrier_signal -1
	s_barrier_wait -1
	global_inv scope:SCOPE_SE
	ds_store_2addr_b64 v232, v[126:127], v[204:205] offset1:1
	ds_store_2addr_b64 v232, v[206:207], v[208:209] offset0:2 offset1:3
	v_add_f64_e64 v[126:127], v[180:181], -v[194:195]
	ds_store_2addr_b64 v232, v[126:127], v[0:1] offset0:4 offset1:5
	ds_store_b64 v232, v[174:175] offset:48
	v_add_f64_e32 v[0:1], v[184:185], v[178:179]
	v_add_f64_e64 v[126:127], v[178:179], -v[156:157]
	v_add_f64_e64 v[174:175], v[156:157], -v[184:185]
	v_add_f64_e32 v[180:181], v[186:187], v[182:183]
	v_add_f64_e64 v[178:179], v[184:185], -v[178:179]
	v_add_f64_e64 v[184:185], v[186:187], -v[182:183]
	;; [unrolled: 1-line block ×3, first 2 shown]
	v_mov_b32_e32 v209, v254
	v_add_f64_e32 v[0:1], v[156:157], v[0:1]
	v_mul_f64_e32 v[126:127], s[18:19], v[126:127]
	v_add_f64_e32 v[180:181], v[180:181], v[176:177]
	v_add_f64_e64 v[176:177], v[182:183], -v[176:177]
	v_mul_f64_e32 v[182:183], s[24:25], v[174:175]
	v_add_f64_e32 v[22:23], v[22:23], v[0:1]
	v_fma_f64 v[174:175], v[174:175], s[24:25], v[126:127]
	v_fma_f64 v[126:127], v[178:179], s[14:15], -v[126:127]
	s_delay_alu instid0(VALU_DEP_4) | instskip(SKIP_3) | instid1(VALU_DEP_3)
	v_fma_f64 v[182:183], v[178:179], s[4:5], -v[182:183]
	v_mul_f64_e32 v[178:179], s[22:23], v[184:185]
	v_mul_f64_e32 v[184:185], s[2:3], v[176:177]
	v_fma_f64 v[0:1], v[0:1], s[20:21], v[22:23]
	v_fma_f64 v[176:177], v[176:177], s[2:3], -v[178:179]
	s_delay_alu instid0(VALU_DEP_3) | instskip(SKIP_1) | instid1(VALU_DEP_4)
	v_fma_f64 v[184:185], v[186:187], s[12:13], -v[184:185]
	v_fma_f64 v[186:187], v[186:187], s[10:11], v[178:179]
	v_add_f64_e32 v[174:175], v[174:175], v[0:1]
	v_add_f64_e32 v[178:179], v[182:183], v[0:1]
	;; [unrolled: 1-line block ×3, first 2 shown]
	v_fma_f64 v[176:177], v[180:181], s[0:1], v[176:177]
	v_fma_f64 v[182:183], v[180:181], s[0:1], v[184:185]
	;; [unrolled: 1-line block ×3, first 2 shown]
	s_delay_alu instid0(VALU_DEP_3) | instskip(NEXT) | instid1(VALU_DEP_3)
	v_add_f64_e32 v[186:187], v[176:177], v[178:179]
	v_add_f64_e64 v[184:185], v[0:1], -v[182:183]
	s_delay_alu instid0(VALU_DEP_3)
	v_add_f64_e64 v[180:181], v[174:175], -v[126:127]
	ds_store_2addr_b64 v202, v[22:23], v[180:181] offset1:1
	ds_store_2addr_b64 v202, v[184:185], v[186:187] offset0:2 offset1:3
	v_add_f64_e64 v[22:23], v[178:179], -v[176:177]
	v_add_f64_e32 v[0:1], v[182:183], v[0:1]
	v_add_f64_e32 v[126:127], v[126:127], v[174:175]
	ds_store_2addr_b64 v202, v[22:23], v[0:1] offset0:4 offset1:5
	ds_store_b64 v202, v[126:127] offset:48
	v_add_f64_e32 v[0:1], v[142:143], v[148:149]
	v_add_f64_e64 v[22:23], v[148:149], -v[132:133]
	v_add_f64_e64 v[126:127], v[132:133], -v[142:143]
	;; [unrolled: 1-line block ×3, first 2 shown]
	s_delay_alu instid0(VALU_DEP_4)
	v_add_f64_e32 v[0:1], v[132:133], v[0:1]
	v_add_f64_e64 v[132:133], v[142:143], -v[148:149]
	v_add_f64_e32 v[142:143], v[154:155], v[248:249]
	v_add_f64_e64 v[148:149], v[154:155], -v[248:249]
	v_mul_f64_e32 v[22:23], s[18:19], v[22:23]
	v_mul_f64_e32 v[176:177], s[24:25], v[126:127]
	v_add_f64_e32 v[18:19], v[18:19], v[0:1]
	v_add_f64_e32 v[142:143], v[142:143], v[140:141]
	v_add_f64_e64 v[140:141], v[248:249], -v[140:141]
	v_fma_f64 v[126:127], v[126:127], s[24:25], v[22:23]
	v_fma_f64 v[176:177], v[132:133], s[4:5], -v[176:177]
	v_fma_f64 v[22:23], v[132:133], s[14:15], -v[22:23]
	v_mul_f64_e32 v[132:133], s[22:23], v[148:149]
	v_fma_f64 v[0:1], v[0:1], s[20:21], v[18:19]
	v_mul_f64_e32 v[148:149], s[2:3], v[140:141]
	s_delay_alu instid0(VALU_DEP_3) | instskip(SKIP_1) | instid1(VALU_DEP_4)
	v_fma_f64 v[140:141], v[140:141], s[2:3], -v[132:133]
	v_fma_f64 v[132:133], v[174:175], s[10:11], v[132:133]
	v_add_f64_e32 v[126:127], v[126:127], v[0:1]
	s_delay_alu instid0(VALU_DEP_4)
	v_fma_f64 v[148:149], v[174:175], s[12:13], -v[148:149]
	v_add_f64_e32 v[174:175], v[176:177], v[0:1]
	v_add_f64_e32 v[0:1], v[22:23], v[0:1]
	v_fma_f64 v[22:23], v[142:143], s[0:1], v[132:133]
	v_fma_f64 v[132:133], v[142:143], s[0:1], v[140:141]
	;; [unrolled: 1-line block ×3, first 2 shown]
	s_delay_alu instid0(VALU_DEP_3) | instskip(NEXT) | instid1(VALU_DEP_3)
	v_add_f64_e64 v[142:143], v[126:127], -v[22:23]
	v_add_f64_e32 v[148:149], v[132:133], v[174:175]
	v_add_f64_e32 v[22:23], v[22:23], v[126:127]
	v_add_f64_e64 v[126:127], v[114:115], -v[116:117]
	v_add_f64_e64 v[176:177], v[0:1], -v[140:141]
	ds_store_2addr_b64 v203, v[18:19], v[142:143] offset1:1
	ds_store_2addr_b64 v203, v[176:177], v[148:149] offset0:2 offset1:3
	v_add_f64_e64 v[18:19], v[174:175], -v[132:133]
	v_add_f64_e32 v[0:1], v[140:141], v[0:1]
	ds_store_2addr_b64 v203, v[18:19], v[0:1] offset0:4 offset1:5
	ds_store_b64 v203, v[22:23] offset:48
	v_add_f64_e32 v[0:1], v[120:121], v[10:11]
	v_add_f64_e64 v[18:19], v[10:11], -v[122:123]
	v_add_f64_e64 v[22:23], v[122:123], -v[120:121]
	;; [unrolled: 1-line block ×3, first 2 shown]
	s_delay_alu instid0(VALU_DEP_4)
	v_add_f64_e32 v[0:1], v[122:123], v[0:1]
	v_add_f64_e32 v[121:122], v[114:115], v[116:117]
	v_add_f64_e64 v[114:115], v[124:125], -v[114:115]
	v_add_f64_e64 v[116:117], v[116:117], -v[124:125]
	v_mul_f64_e32 v[18:19], s[18:19], v[18:19]
	v_add_f64_e32 v[14:15], v[229:230], v[0:1]
	v_add_f64_e32 v[121:122], v[121:122], v[124:125]
	v_mul_f64_e32 v[123:124], s[24:25], v[22:23]
	s_delay_alu instid0(VALU_DEP_4) | instskip(SKIP_2) | instid1(VALU_DEP_4)
	v_fma_f64 v[22:23], v[22:23], s[24:25], v[18:19]
	v_fma_f64 v[18:19], v[119:120], s[14:15], -v[18:19]
	v_fma_f64 v[0:1], v[0:1], s[20:21], v[14:15]
	v_fma_f64 v[123:124], v[119:120], s[4:5], -v[123:124]
	v_mul_f64_e32 v[119:120], s[22:23], v[126:127]
	v_mul_f64_e32 v[125:126], s[2:3], v[116:117]
	s_delay_alu instid0(VALU_DEP_4) | instskip(NEXT) | instid1(VALU_DEP_4)
	v_add_f64_e32 v[22:23], v[22:23], v[0:1]
	v_add_f64_e32 v[123:124], v[123:124], v[0:1]
	s_delay_alu instid0(VALU_DEP_4) | instskip(SKIP_3) | instid1(VALU_DEP_4)
	v_fma_f64 v[116:117], v[116:117], s[2:3], -v[119:120]
	v_fma_f64 v[119:120], v[114:115], s[10:11], v[119:120]
	v_fma_f64 v[114:115], v[114:115], s[12:13], -v[125:126]
	v_add_f64_e32 v[0:1], v[18:19], v[0:1]
	v_fma_f64 v[116:117], v[121:122], s[0:1], v[116:117]
	s_delay_alu instid0(VALU_DEP_4) | instskip(NEXT) | instid1(VALU_DEP_4)
	v_fma_f64 v[18:19], v[121:122], s[0:1], v[119:120]
	v_fma_f64 v[114:115], v[121:122], s[0:1], v[114:115]
	s_delay_alu instid0(VALU_DEP_3) | instskip(NEXT) | instid1(VALU_DEP_3)
	v_add_f64_e32 v[121:122], v[116:117], v[123:124]
	v_add_f64_e64 v[119:120], v[22:23], -v[18:19]
	s_delay_alu instid0(VALU_DEP_3)
	v_add_f64_e64 v[125:126], v[0:1], -v[114:115]
	ds_store_2addr_b64 v111, v[14:15], v[119:120] offset1:1
	ds_store_2addr_b64 v111, v[125:126], v[121:122] offset0:2 offset1:3
	v_add_f64_e64 v[14:15], v[123:124], -v[116:117]
	v_add_f64_e32 v[0:1], v[114:115], v[0:1]
	v_add_f64_e32 v[18:19], v[18:19], v[22:23]
	ds_store_2addr_b64 v111, v[14:15], v[0:1] offset0:4 offset1:5
	ds_store_b64 v111, v[18:19] offset:48
	v_add_f64_e32 v[0:1], v[138:139], v[6:7]
	v_add_f64_e64 v[14:15], v[6:7], -v[146:147]
	v_add_f64_e64 v[18:19], v[146:147], -v[138:139]
	;; [unrolled: 1-line block ×5, first 2 shown]
	v_add_f64_e32 v[110:111], v[144:145], v[136:137]
	v_add_f64_e64 v[116:117], v[134:135], -v[144:145]
	v_add_f64_e32 v[0:1], v[146:147], v[0:1]
	v_mul_f64_e32 v[14:15], s[18:19], v[14:15]
	v_mul_f64_e32 v[121:122], s[24:25], v[18:19]
	v_add_f64_e32 v[110:111], v[110:111], v[134:135]
	s_delay_alu instid0(VALU_DEP_4) | instskip(NEXT) | instid1(VALU_DEP_4)
	v_add_f64_e32 v[10:11], v[227:228], v[0:1]
	v_fma_f64 v[18:19], v[18:19], s[24:25], v[14:15]
	s_delay_alu instid0(VALU_DEP_4) | instskip(SKIP_4) | instid1(VALU_DEP_3)
	v_fma_f64 v[121:122], v[22:23], s[4:5], -v[121:122]
	v_fma_f64 v[14:15], v[22:23], s[14:15], -v[14:15]
	v_mul_f64_e32 v[22:23], s[22:23], v[114:115]
	v_mul_f64_e32 v[114:115], s[2:3], v[119:120]
	v_fma_f64 v[0:1], v[0:1], s[20:21], v[10:11]
	v_fma_f64 v[119:120], v[119:120], s[2:3], -v[22:23]
	v_fma_f64 v[22:23], v[116:117], s[10:11], v[22:23]
	s_delay_alu instid0(VALU_DEP_4) | instskip(NEXT) | instid1(VALU_DEP_4)
	v_fma_f64 v[114:115], v[116:117], s[12:13], -v[114:115]
	v_add_f64_e32 v[18:19], v[18:19], v[0:1]
	v_add_f64_e32 v[116:117], v[121:122], v[0:1]
	;; [unrolled: 1-line block ×3, first 2 shown]
	v_fma_f64 v[14:15], v[110:111], s[0:1], v[22:23]
	v_fma_f64 v[22:23], v[110:111], s[0:1], v[119:120]
	;; [unrolled: 1-line block ×3, first 2 shown]
	s_delay_alu instid0(VALU_DEP_3) | instskip(NEXT) | instid1(VALU_DEP_3)
	v_add_f64_e64 v[114:115], v[18:19], -v[14:15]
	v_add_f64_e32 v[119:120], v[22:23], v[116:117]
	s_delay_alu instid0(VALU_DEP_3)
	v_add_f64_e64 v[121:122], v[0:1], -v[110:111]
	ds_store_2addr_b64 v201, v[10:11], v[114:115] offset1:1
	ds_store_2addr_b64 v201, v[121:122], v[119:120] offset0:2 offset1:3
	v_add_f64_e64 v[10:11], v[116:117], -v[22:23]
	v_add_f64_e32 v[0:1], v[110:111], v[0:1]
	v_add_f64_e32 v[14:15], v[14:15], v[18:19]
	ds_store_2addr_b64 v201, v[10:11], v[0:1] offset0:4 offset1:5
	ds_store_b64 v201, v[14:15] offset:48
	v_add_f64_e32 v[0:1], v[2:3], v[128:129]
	v_add_f64_e64 v[10:11], v[128:129], -v[160:161]
	v_add_f64_e64 v[14:15], v[160:161], -v[2:3]
	;; [unrolled: 1-line block ×5, first 2 shown]
	v_add_f64_e32 v[22:23], v[158:159], v[112:113]
	v_add_f64_e64 v[114:115], v[130:131], -v[158:159]
	v_mov_b32_e32 v112, v252
	v_mov_b32_e32 v208, v241
	v_add_f64_e32 v[0:1], v[160:161], v[0:1]
	v_mul_f64_e32 v[10:11], s[18:19], v[10:11]
	v_mul_f64_e32 v[119:120], s[24:25], v[14:15]
	v_add_f64_e32 v[22:23], v[22:23], v[130:131]
	s_delay_alu instid0(VALU_DEP_4) | instskip(NEXT) | instid1(VALU_DEP_4)
	v_add_f64_e32 v[5:6], v[218:219], v[0:1]
	v_fma_f64 v[14:15], v[14:15], s[24:25], v[10:11]
	s_delay_alu instid0(VALU_DEP_4) | instskip(SKIP_4) | instid1(VALU_DEP_3)
	v_fma_f64 v[119:120], v[18:19], s[4:5], -v[119:120]
	v_fma_f64 v[10:11], v[18:19], s[14:15], -v[10:11]
	v_mul_f64_e32 v[18:19], s[22:23], v[110:111]
	v_mul_f64_e32 v[110:111], s[2:3], v[116:117]
	v_fma_f64 v[0:1], v[0:1], s[20:21], v[5:6]
	v_fma_f64 v[116:117], v[116:117], s[2:3], -v[18:19]
	v_fma_f64 v[18:19], v[114:115], s[10:11], v[18:19]
	s_delay_alu instid0(VALU_DEP_4) | instskip(NEXT) | instid1(VALU_DEP_4)
	v_fma_f64 v[110:111], v[114:115], s[12:13], -v[110:111]
	v_add_f64_e32 v[14:15], v[14:15], v[0:1]
	v_add_f64_e32 v[114:115], v[119:120], v[0:1]
	;; [unrolled: 1-line block ×3, first 2 shown]
	v_fma_f64 v[10:11], v[22:23], s[0:1], v[18:19]
	v_fma_f64 v[18:19], v[22:23], s[0:1], v[116:117]
	v_fma_f64 v[22:23], v[22:23], s[0:1], v[110:111]
	s_delay_alu instid0(VALU_DEP_3) | instskip(NEXT) | instid1(VALU_DEP_3)
	v_add_f64_e64 v[110:111], v[14:15], -v[10:11]
	v_add_f64_e32 v[116:117], v[18:19], v[114:115]
	s_delay_alu instid0(VALU_DEP_3)
	v_add_f64_e64 v[119:120], v[0:1], -v[22:23]
	ds_store_2addr_b64 v4, v[5:6], v[110:111] offset1:1
	ds_store_2addr_b64 v4, v[119:120], v[116:117] offset0:2 offset1:3
	v_add_f64_e64 v[5:6], v[114:115], -v[18:19]
	v_add_f64_e32 v[0:1], v[22:23], v[0:1]
	v_add_f64_e32 v[10:11], v[10:11], v[14:15]
	ds_store_2addr_b64 v4, v[5:6], v[0:1] offset0:4 offset1:5
	ds_store_b64 v4, v[10:11] offset:48
	v_add_f64_e32 v[0:1], v[150:151], v[164:165]
	v_add_f64_e64 v[4:5], v[164:165], -v[246:247]
	v_add_f64_e64 v[6:7], v[246:247], -v[150:151]
	;; [unrolled: 1-line block ×5, first 2 shown]
	v_add_f64_e32 v[14:15], v[170:171], v[152:153]
	v_add_f64_e64 v[22:23], v[162:163], -v[170:171]
	v_add_f64_e32 v[0:1], v[246:247], v[0:1]
	v_mul_f64_e32 v[4:5], s[18:19], v[4:5]
	v_mul_f64_e32 v[114:115], s[24:25], v[6:7]
	v_add_f64_e32 v[14:15], v[14:15], v[162:163]
	s_delay_alu instid0(VALU_DEP_4) | instskip(NEXT) | instid1(VALU_DEP_4)
	v_add_f64_e32 v[2:3], v[216:217], v[0:1]
	v_fma_f64 v[6:7], v[6:7], s[24:25], v[4:5]
	s_delay_alu instid0(VALU_DEP_4) | instskip(SKIP_4) | instid1(VALU_DEP_3)
	v_fma_f64 v[114:115], v[10:11], s[4:5], -v[114:115]
	v_fma_f64 v[4:5], v[10:11], s[14:15], -v[4:5]
	v_mul_f64_e32 v[10:11], s[22:23], v[18:19]
	v_mul_f64_e32 v[18:19], s[2:3], v[110:111]
	v_fma_f64 v[0:1], v[0:1], s[20:21], v[2:3]
	v_fma_f64 v[110:111], v[110:111], s[2:3], -v[10:11]
	v_fma_f64 v[10:11], v[22:23], s[10:11], v[10:11]
	s_delay_alu instid0(VALU_DEP_4) | instskip(NEXT) | instid1(VALU_DEP_4)
	v_fma_f64 v[18:19], v[22:23], s[12:13], -v[18:19]
	v_add_f64_e32 v[6:7], v[6:7], v[0:1]
	v_add_f64_e32 v[22:23], v[114:115], v[0:1]
	;; [unrolled: 1-line block ×3, first 2 shown]
	v_fma_f64 v[4:5], v[14:15], s[0:1], v[10:11]
	v_fma_f64 v[10:11], v[14:15], s[0:1], v[110:111]
	;; [unrolled: 1-line block ×3, first 2 shown]
	s_delay_alu instid0(VALU_DEP_3) | instskip(NEXT) | instid1(VALU_DEP_3)
	v_add_f64_e64 v[18:19], v[6:7], -v[4:5]
	v_add_f64_e32 v[110:111], v[10:11], v[22:23]
	s_delay_alu instid0(VALU_DEP_3)
	v_add_f64_e64 v[114:115], v[0:1], -v[14:15]
	ds_store_2addr_b64 v118, v[2:3], v[18:19] offset1:1
	ds_store_2addr_b64 v118, v[114:115], v[110:111] offset0:2 offset1:3
	v_add_f64_e64 v[2:3], v[22:23], -v[10:11]
	v_add_f64_e32 v[0:1], v[14:15], v[0:1]
	v_add_f64_e32 v[4:5], v[4:5], v[6:7]
	scratch_store_b32 off, v118, off offset:312 ; 4-byte Folded Spill
	v_dual_mov_b32 v110, v253 :: v_dual_mov_b32 v253, v109
	ds_store_2addr_b64 v118, v[2:3], v[0:1] offset0:4 offset1:5
	ds_store_b64 v118, v[4:5] offset:48
	v_and_b32_e32 v0, 0xff, v200
	global_wb scope:SCOPE_SE
	s_wait_storecnt_dscnt 0x0
	s_barrier_signal -1
	s_barrier_wait -1
	global_inv scope:SCOPE_SE
	v_mul_lo_u16 v0, v0, 37
	ds_load_2addr_b64 v[4:7], v108 offset0:87 offset1:136
	v_lshrrev_b16 v0, 8, v0
	s_delay_alu instid0(VALU_DEP_1) | instskip(NEXT) | instid1(VALU_DEP_1)
	v_sub_nc_u16 v1, v200, v0
	v_lshrrev_b16 v1, 1, v1
	s_delay_alu instid0(VALU_DEP_1) | instskip(NEXT) | instid1(VALU_DEP_1)
	v_and_b32_e32 v1, 0x7f, v1
	v_add_nc_u16 v0, v1, v0
	s_delay_alu instid0(VALU_DEP_1) | instskip(NEXT) | instid1(VALU_DEP_1)
	v_lshrrev_b16 v118, 2, v0
	v_mul_lo_u16 v0, v118, 7
	s_delay_alu instid0(VALU_DEP_1) | instskip(NEXT) | instid1(VALU_DEP_1)
	v_sub_nc_u16 v0, v200, v0
	v_and_b32_e32 v252, 0xff, v0
	s_delay_alu instid0(VALU_DEP_1) | instskip(NEXT) | instid1(VALU_DEP_1)
	v_mul_u32_u24_e32 v0, 6, v252
	v_lshlrev_b32_e32 v14, 4, v0
	s_clause 0x1
	global_load_b128 v[0:3], v14, s[8:9]
	global_load_b128 v[162:165], v14, s[8:9] offset:16
	s_wait_loadcnt_dscnt 0x100
	v_mul_f64_e32 v[10:11], v[4:5], v[2:3]
	v_mul_f64_e32 v[2:3], v[104:105], v[2:3]
	s_delay_alu instid0(VALU_DEP_2) | instskip(NEXT) | instid1(VALU_DEP_2)
	v_fma_f64 v[212:213], v[104:105], v[0:1], v[10:11]
	v_fma_f64 v[210:211], v[4:5], v[0:1], -v[2:3]
	v_and_b32_e32 v2, 0xff, v250
	v_dual_mov_b32 v10, v17 :: v_dual_mov_b32 v11, v167
	s_delay_alu instid0(VALU_DEP_2) | instskip(NEXT) | instid1(VALU_DEP_1)
	v_mul_lo_u16 v2, v2, 37
	v_lshrrev_b16 v2, 8, v2
	s_delay_alu instid0(VALU_DEP_1) | instskip(NEXT) | instid1(VALU_DEP_1)
	v_sub_nc_u16 v3, v250, v2
	v_lshrrev_b16 v3, 1, v3
	s_delay_alu instid0(VALU_DEP_1) | instskip(NEXT) | instid1(VALU_DEP_1)
	v_and_b32_e32 v3, 0x7f, v3
	v_add_nc_u16 v2, v3, v2
	s_delay_alu instid0(VALU_DEP_1) | instskip(NEXT) | instid1(VALU_DEP_1)
	v_lshrrev_b16 v111, 2, v2
	v_mul_lo_u16 v2, v111, 7
	s_delay_alu instid0(VALU_DEP_1) | instskip(NEXT) | instid1(VALU_DEP_1)
	v_sub_nc_u16 v2, v250, v2
	v_and_b32_e32 v201, 0xff, v2
	s_delay_alu instid0(VALU_DEP_1) | instskip(NEXT) | instid1(VALU_DEP_1)
	v_mul_u32_u24_e32 v2, 6, v201
	v_lshlrev_b32_e32 v22, 4, v2
	s_clause 0x2
	global_load_b128 v[2:5], v22, s[8:9]
	global_load_b128 v[114:117], v22, s[8:9] offset:16
	global_load_b128 v[216:219], v14, s[8:9] offset:48
	s_wait_loadcnt 0x2
	v_mul_f64_e32 v[18:19], v[6:7], v[4:5]
	v_mul_f64_e32 v[4:5], v[106:107], v[4:5]
	s_delay_alu instid0(VALU_DEP_2) | instskip(NEXT) | instid1(VALU_DEP_2)
	v_fma_f64 v[187:188], v[106:107], v[2:3], v[18:19]
	v_fma_f64 v[214:215], v[6:7], v[2:3], -v[4:5]
	global_load_b128 v[4:7], v14, s[8:9] offset:32
	ds_load_2addr_b64 v[104:107], v243 offset0:5 offset1:54
	s_clause 0x1
	global_load_b128 v[119:122], v22, s[8:9] offset:32
	global_load_b128 v[123:126], v22, s[8:9] offset:48
	s_wait_loadcnt_dscnt 0x200
	v_mul_f64_e32 v[2:3], v[104:105], v[6:7]
	v_mul_f64_e32 v[6:7], v[100:101], v[6:7]
	s_delay_alu instid0(VALU_DEP_2) | instskip(NEXT) | instid1(VALU_DEP_2)
	v_fma_f64 v[2:3], v[100:101], v[4:5], v[2:3]
	v_fma_f64 v[4:5], v[104:105], v[4:5], -v[6:7]
	s_wait_loadcnt 0x1
	v_mul_f64_e32 v[6:7], v[106:107], v[121:122]
	s_delay_alu instid0(VALU_DEP_1)
	v_fma_f64 v[8:9], v[102:103], v[119:120], v[6:7]
	v_mul_f64_e32 v[6:7], v[102:103], v[121:122]
	s_clause 0x1
	global_load_b128 v[100:103], v14, s[8:9] offset:64
	global_load_b128 v[228:231], v14, s[8:9] offset:80
	v_fma_f64 v[152:153], v[106:107], v[119:120], -v[6:7]
	ds_load_2addr_b64 v[104:107], v224 offset0:179 offset1:228
	s_wait_loadcnt_dscnt 0x100
	v_mul_f64_e32 v[6:7], v[104:105], v[102:103]
	v_mul_f64_e32 v[14:15], v[96:97], v[102:103]
	s_delay_alu instid0(VALU_DEP_2) | instskip(NEXT) | instid1(VALU_DEP_2)
	v_fma_f64 v[6:7], v[96:97], v[100:101], v[6:7]
	v_fma_f64 v[14:15], v[104:105], v[100:101], -v[14:15]
	s_clause 0x1
	global_load_b128 v[100:103], v22, s[8:9] offset:64
	global_load_b128 v[119:122], v22, s[8:9] offset:80
	v_mov_b32_e32 v96, v221
	s_wait_loadcnt 0x1
	v_mul_f64_e32 v[18:19], v[106:107], v[102:103]
	s_delay_alu instid0(VALU_DEP_1) | instskip(SKIP_1) | instid1(VALU_DEP_1)
	v_fma_f64 v[146:147], v[98:99], v[100:101], v[18:19]
	v_mul_f64_e32 v[18:19], v[98:99], v[102:103]
	v_fma_f64 v[144:145], v[106:107], v[100:101], -v[18:19]
	ds_load_2addr_b64 v[98:101], v109 offset0:95 offset1:144
	s_wait_dscnt 0x0
	v_mul_f64_e32 v[18:19], v[98:99], v[116:117]
	s_delay_alu instid0(VALU_DEP_1) | instskip(SKIP_1) | instid1(VALU_DEP_1)
	v_fma_f64 v[142:143], v[92:93], v[114:115], v[18:19]
	v_mul_f64_e32 v[18:19], v[92:93], v[116:117]
	v_fma_f64 v[140:141], v[98:99], v[114:115], -v[18:19]
	v_and_b32_e32 v18, 0xff, v189
	s_delay_alu instid0(VALU_DEP_1) | instskip(NEXT) | instid1(VALU_DEP_1)
	v_mul_lo_u16 v18, v18, 37
	v_lshrrev_b16 v18, 8, v18
	s_delay_alu instid0(VALU_DEP_1) | instskip(NEXT) | instid1(VALU_DEP_1)
	v_sub_nc_u16 v19, v189, v18
	v_lshrrev_b16 v19, 1, v19
	s_delay_alu instid0(VALU_DEP_1) | instskip(NEXT) | instid1(VALU_DEP_1)
	v_and_b32_e32 v19, 0x7f, v19
	v_add_nc_u16 v18, v19, v18
	s_delay_alu instid0(VALU_DEP_1) | instskip(NEXT) | instid1(VALU_DEP_1)
	v_lshrrev_b16 v98, 2, v18
	v_mul_lo_u16 v18, v98, 7
	s_delay_alu instid0(VALU_DEP_1) | instskip(NEXT) | instid1(VALU_DEP_1)
	v_sub_nc_u16 v18, v189, v18
	v_and_b32_e32 v99, 0xff, v18
	s_delay_alu instid0(VALU_DEP_1) | instskip(NEXT) | instid1(VALU_DEP_1)
	v_mul_u32_u24_e32 v18, 6, v99
	v_lshlrev_b32_e32 v22, 4, v18
	s_clause 0x1
	global_load_b128 v[102:105], v22, s[8:9] offset:16
	global_load_b128 v[114:117], v22, s[8:9]
	s_wait_loadcnt 0x1
	v_mul_f64_e32 v[18:19], v[100:101], v[104:105]
	s_delay_alu instid0(VALU_DEP_1)
	v_fma_f64 v[0:1], v[94:95], v[102:103], v[18:19]
	v_mul_f64_e32 v[18:19], v[94:95], v[104:105]
	ds_load_2addr_b64 v[92:95], v16 offset0:141 offset1:190
	v_mov_b32_e32 v104, v16
	scratch_store_b64 off, v[0:1], off offset:68 ; 8-byte Folded Spill
	v_fma_f64 v[204:205], v[100:101], v[102:103], -v[18:19]
	s_clause 0x1
	global_load_b128 v[100:103], v22, s[8:9] offset:48
	global_load_b128 v[128:131], v22, s[8:9] offset:32
	s_wait_dscnt 0x0
	v_mul_f64_e32 v[18:19], v[92:93], v[125:126]
	s_delay_alu instid0(VALU_DEP_1) | instskip(SKIP_1) | instid1(VALU_DEP_1)
	v_fma_f64 v[138:139], v[88:89], v[123:124], v[18:19]
	v_mul_f64_e32 v[18:19], v[88:89], v[125:126]
	v_fma_f64 v[136:137], v[92:93], v[123:124], -v[18:19]
	s_wait_loadcnt 0x1
	v_mul_f64_e32 v[18:19], v[94:95], v[102:103]
	s_delay_alu instid0(VALU_DEP_1)
	v_fma_f64 v[0:1], v[90:91], v[100:101], v[18:19]
	v_mul_f64_e32 v[18:19], v[90:91], v[102:103]
	ds_load_2addr_b64 v[88:91], v17 offset0:59 offset1:108
	scratch_store_b64 off, v[0:1], off offset:36 ; 8-byte Folded Spill
	v_fma_f64 v[202:203], v[94:95], v[100:101], -v[18:19]
	s_clause 0x1
	global_load_b128 v[92:95], v22, s[8:9] offset:80
	global_load_b128 v[132:135], v22, s[8:9] offset:64
	s_wait_dscnt 0x0
	v_mul_f64_e32 v[18:19], v[88:89], v[121:122]
	scratch_store_b32 off, v112, off offset:132 ; 4-byte Folded Spill
	v_fma_f64 v[106:107], v[84:85], v[119:120], v[18:19]
	v_mul_f64_e32 v[18:19], v[84:85], v[121:122]
	s_delay_alu instid0(VALU_DEP_1) | instskip(SKIP_2) | instid1(VALU_DEP_1)
	v_fma_f64 v[100:101], v[88:89], v[119:120], -v[18:19]
	s_wait_loadcnt 0x1
	v_mul_f64_e32 v[18:19], v[90:91], v[94:95]
	v_fma_f64 v[0:1], v[86:87], v[92:93], v[18:19]
	v_mul_f64_e32 v[18:19], v[86:87], v[94:95]
	ds_load_2addr_b64 v[84:87], v108 offset0:185 offset1:234
	scratch_store_b64 off, v[0:1], off offset:84 ; 8-byte Folded Spill
	v_fma_f64 v[125:126], v[90:91], v[92:93], -v[18:19]
	s_wait_dscnt 0x0
	v_mul_f64_e32 v[18:19], v[84:85], v[116:117]
	s_delay_alu instid0(VALU_DEP_1) | instskip(SKIP_4) | instid1(VALU_DEP_1)
	v_fma_f64 v[0:1], v[80:81], v[114:115], v[18:19]
	v_mul_f64_e32 v[18:19], v[80:81], v[116:117]
	scratch_store_b64 off, v[0:1], off offset:100 ; 8-byte Folded Spill
	v_fma_f64 v[114:115], v[84:85], v[114:115], -v[18:19]
	v_and_b32_e32 v18, 0xff, v112
	v_mul_lo_u16 v18, v18, 37
	s_delay_alu instid0(VALU_DEP_1) | instskip(NEXT) | instid1(VALU_DEP_1)
	v_lshrrev_b16 v18, 8, v18
	v_sub_nc_u16 v19, v112, v18
	s_delay_alu instid0(VALU_DEP_1) | instskip(NEXT) | instid1(VALU_DEP_1)
	v_lshrrev_b16 v19, 1, v19
	v_and_b32_e32 v19, 0x7f, v19
	s_delay_alu instid0(VALU_DEP_1) | instskip(NEXT) | instid1(VALU_DEP_1)
	v_add_nc_u16 v18, v19, v18
	v_lshrrev_b16 v80, 2, v18
	s_delay_alu instid0(VALU_DEP_1) | instskip(NEXT) | instid1(VALU_DEP_1)
	v_mul_lo_u16 v18, v80, 7
	v_sub_nc_u16 v18, v112, v18
	s_delay_alu instid0(VALU_DEP_1) | instskip(SKIP_1) | instid1(VALU_DEP_2)
	v_dual_mov_b32 v122, v202 :: v_dual_and_b32 v81, 0xff, v18
	v_mov_b32_e32 v123, v203
	v_mul_u32_u24_e32 v18, 6, v81
	s_delay_alu instid0(VALU_DEP_1)
	v_lshlrev_b32_e32 v22, 4, v18
	s_clause 0x1
	global_load_b128 v[88:91], v22, s[8:9]
	global_load_b128 v[92:95], v22, s[8:9] offset:16
	s_wait_loadcnt 0x1
	v_mul_f64_e32 v[18:19], v[86:87], v[90:91]
	s_delay_alu instid0(VALU_DEP_1)
	v_fma_f64 v[185:186], v[82:83], v[88:89], v[18:19]
	v_mul_f64_e32 v[18:19], v[82:83], v[90:91]
	ds_load_2addr_b64 v[82:85], v243 offset0:103 offset1:152
	v_fma_f64 v[116:117], v[86:87], v[88:89], -v[18:19]
	s_wait_dscnt 0x0
	v_mul_f64_e32 v[18:19], v[82:83], v[130:131]
	s_delay_alu instid0(VALU_DEP_1)
	v_fma_f64 v[0:1], v[76:77], v[128:129], v[18:19]
	v_mul_f64_e32 v[18:19], v[76:77], v[130:131]
	scratch_store_b64 off, v[0:1], off offset:52 ; 8-byte Folded Spill
	s_clause 0x1
	global_load_b128 v[86:89], v22, s[8:9] offset:32
	global_load_b128 v[158:161], v22, s[8:9] offset:48
	v_fma_f64 v[246:247], v[82:83], v[128:129], -v[18:19]
	s_wait_loadcnt 0x1
	v_mul_f64_e32 v[18:19], v[84:85], v[88:89]
	s_delay_alu instid0(VALU_DEP_1)
	v_fma_f64 v[16:17], v[78:79], v[86:87], v[18:19]
	v_mul_f64_e32 v[18:19], v[78:79], v[88:89]
	ds_load_2addr_b64 v[76:79], v167 offset0:21 offset1:70
	v_fma_f64 v[108:109], v[84:85], v[86:87], -v[18:19]
	s_wait_dscnt 0x0
	v_mul_f64_e32 v[18:19], v[76:77], v[134:135]
	s_delay_alu instid0(VALU_DEP_1) | instskip(SKIP_1) | instid1(VALU_DEP_1)
	v_fma_f64 v[0:1], v[72:73], v[132:133], v[18:19]
	v_mul_f64_e32 v[18:19], v[72:73], v[134:135]
	v_fma_f64 v[120:121], v[76:77], v[132:133], -v[18:19]
	s_clause 0x1
	scratch_store_b64 off, v[0:1], off offset:108
	scratch_store_b64 off, v[120:121], off offset:248
	s_clause 0x1
	global_load_b128 v[82:85], v22, s[8:9] offset:64
	global_load_b128 v[86:89], v22, s[8:9] offset:80
	scratch_store_b32 off, v110, off offset:136 ; 4-byte Folded Spill
	s_wait_loadcnt 0x1
	v_mul_f64_e32 v[18:19], v[78:79], v[84:85]
	s_delay_alu instid0(VALU_DEP_1)
	v_fma_f64 v[0:1], v[74:75], v[82:83], v[18:19]
	v_mul_f64_e32 v[18:19], v[74:75], v[84:85]
	ds_load_2addr_b64 v[72:75], v172 offset0:65 offset1:114
	scratch_store_b64 off, v[0:1], off offset:116 ; 8-byte Folded Spill
	v_fma_f64 v[169:170], v[78:79], v[82:83], -v[18:19]
	s_wait_dscnt 0x0
	v_mul_f64_e32 v[18:19], v[72:73], v[94:95]
	v_mov_b32_e32 v0, v172
	s_delay_alu instid0(VALU_DEP_2) | instskip(SKIP_1) | instid1(VALU_DEP_2)
	v_fma_f64 v[181:182], v[68:69], v[92:93], v[18:19]
	v_mul_f64_e32 v[18:19], v[68:69], v[94:95]
	v_mov_b32_e32 v203, v182
	s_delay_alu instid0(VALU_DEP_2) | instskip(SKIP_2) | instid1(VALU_DEP_2)
	v_fma_f64 v[177:178], v[72:73], v[92:93], -v[18:19]
	v_and_b32_e32 v18, 0xff, v110
	v_mov_b32_e32 v202, v181
	v_mul_lo_u16 v18, v18, 37
	s_delay_alu instid0(VALU_DEP_1) | instskip(NEXT) | instid1(VALU_DEP_1)
	v_lshrrev_b16 v18, 8, v18
	v_sub_nc_u16 v19, v110, v18
	s_delay_alu instid0(VALU_DEP_1) | instskip(NEXT) | instid1(VALU_DEP_1)
	v_lshrrev_b16 v19, 1, v19
	v_and_b32_e32 v19, 0x7f, v19
	s_delay_alu instid0(VALU_DEP_1) | instskip(NEXT) | instid1(VALU_DEP_1)
	v_add_nc_u16 v18, v19, v18
	v_lshrrev_b16 v68, 2, v18
	s_delay_alu instid0(VALU_DEP_1) | instskip(NEXT) | instid1(VALU_DEP_1)
	v_mul_lo_u16 v18, v68, 7
	v_sub_nc_u16 v18, v110, v18
	s_delay_alu instid0(VALU_DEP_1) | instskip(NEXT) | instid1(VALU_DEP_1)
	v_dual_mov_b32 v110, v255 :: v_dual_and_b32 v69, 0xff, v18
	v_mul_u32_u24_e32 v18, 6, v69
	s_delay_alu instid0(VALU_DEP_1)
	v_lshlrev_b32_e32 v22, 4, v18
	s_clause 0x1
	global_load_b128 v[76:79], v22, s[8:9] offset:16
	global_load_b128 v[82:85], v22, s[8:9]
	s_wait_loadcnt 0x1
	v_mul_f64_e32 v[18:19], v[74:75], v[78:79]
	s_delay_alu instid0(VALU_DEP_1)
	v_fma_f64 v[206:207], v[70:71], v[76:77], v[18:19]
	v_mul_f64_e32 v[18:19], v[70:71], v[78:79]
	ds_load_2addr_b64 v[70:73], v221 offset0:111 offset1:160
	v_fma_f64 v[154:155], v[74:75], v[76:77], -v[18:19]
	s_clause 0x1
	global_load_b128 v[74:77], v22, s[8:9] offset:48
	global_load_b128 v[130:133], v22, s[8:9] offset:32
	s_wait_dscnt 0x0
	v_mul_f64_e32 v[18:19], v[70:71], v[160:161]
	s_delay_alu instid0(VALU_DEP_1) | instskip(SKIP_1) | instid1(VALU_DEP_1)
	v_fma_f64 v[156:157], v[64:65], v[158:159], v[18:19]
	v_mul_f64_e32 v[18:19], v[64:65], v[160:161]
	v_fma_f64 v[244:245], v[70:71], v[158:159], -v[18:19]
	s_wait_loadcnt 0x1
	v_mul_f64_e32 v[18:19], v[72:73], v[76:77]
	s_delay_alu instid0(VALU_DEP_1)
	v_fma_f64 v[90:91], v[66:67], v[74:75], v[18:19]
	v_mul_f64_e32 v[18:19], v[66:67], v[76:77]
	ds_load_2addr_b64 v[64:67], v10 offset0:157 offset1:206
	v_fma_f64 v[248:249], v[72:73], v[74:75], -v[18:19]
	s_wait_dscnt 0x0
	v_mul_f64_e32 v[18:19], v[64:65], v[88:89]
	s_delay_alu instid0(VALU_DEP_1) | instskip(SKIP_1) | instid1(VALU_DEP_1)
	v_fma_f64 v[158:159], v[60:61], v[86:87], v[18:19]
	v_mul_f64_e32 v[18:19], v[60:61], v[88:89]
	v_fma_f64 v[160:161], v[64:65], v[86:87], -v[18:19]
	s_clause 0x1
	scratch_store_b64 off, v[158:159], off offset:232
	scratch_store_b64 off, v[160:161], off offset:280
	s_clause 0x1
	global_load_b128 v[70:73], v22, s[8:9] offset:80
	global_load_b128 v[74:77], v22, s[8:9] offset:64
	s_wait_loadcnt 0x1
	v_mul_f64_e32 v[18:19], v[66:67], v[72:73]
	s_delay_alu instid0(VALU_DEP_1)
	v_fma_f64 v[92:93], v[62:63], v[70:71], v[18:19]
	v_mul_f64_e32 v[18:19], v[62:63], v[72:73]
	ds_load_2addr_b64 v[60:63], v223 offset0:27 offset1:76
	v_fma_f64 v[171:172], v[66:67], v[70:71], -v[18:19]
	s_wait_dscnt 0x0
	v_mul_f64_e32 v[18:19], v[60:61], v[84:85]
	s_delay_alu instid0(VALU_DEP_1) | instskip(SKIP_1) | instid1(VALU_DEP_2)
	v_fma_f64 v[174:175], v[56:57], v[82:83], v[18:19]
	v_mul_f64_e32 v[18:19], v[56:57], v[84:85]
	v_mov_b32_e32 v176, v175
	s_delay_alu instid0(VALU_DEP_2) | instskip(NEXT) | instid1(VALU_DEP_4)
	v_fma_f64 v[179:180], v[60:61], v[82:83], -v[18:19]
	v_dual_mov_b32 v175, v174 :: v_dual_and_b32 v18, 0xffff, v255
	scratch_store_b32 off, v18, off offset:144 ; 4-byte Folded Spill
	v_mul_u32_u24_e32 v18, 0x2493, v18
	s_delay_alu instid0(VALU_DEP_1) | instskip(NEXT) | instid1(VALU_DEP_1)
	v_lshrrev_b32_e32 v18, 16, v18
	v_sub_nc_u16 v19, v255, v18
	s_delay_alu instid0(VALU_DEP_1) | instskip(NEXT) | instid1(VALU_DEP_1)
	v_lshrrev_b16 v19, 1, v19
	v_add_nc_u16 v18, v19, v18
	s_delay_alu instid0(VALU_DEP_1) | instskip(NEXT) | instid1(VALU_DEP_1)
	v_lshrrev_b16 v97, 2, v18
	v_mul_lo_u16 v18, v97, 7
	s_delay_alu instid0(VALU_DEP_1) | instskip(NEXT) | instid1(VALU_DEP_1)
	v_sub_nc_u16 v18, v255, v18
	v_and_b32_e32 v222, 0xffff, v18
	s_delay_alu instid0(VALU_DEP_1) | instskip(NEXT) | instid1(VALU_DEP_1)
	v_mul_u32_u24_e32 v18, 6, v222
	v_lshlrev_b32_e32 v22, 4, v18
	s_clause 0x1
	global_load_b128 v[64:67], v22, s[8:9]
	global_load_b128 v[70:73], v22, s[8:9] offset:16
	s_wait_loadcnt 0x1
	v_mul_f64_e32 v[18:19], v[62:63], v[66:67]
	s_delay_alu instid0(VALU_DEP_1)
	v_fma_f64 v[167:168], v[58:59], v[64:65], v[18:19]
	v_mul_f64_e32 v[18:19], v[58:59], v[66:67]
	ds_load_2addr_b64 v[58:61], v243 offset0:201 offset1:250
	v_mov_b32_e32 v67, v251
	v_fma_f64 v[18:19], v[62:63], v[64:65], -v[18:19]
	scratch_store_b64 off, v[18:19], off offset:208 ; 8-byte Folded Spill
	s_clause 0x1
	global_load_b128 v[62:65], v22, s[8:9] offset:32
	global_load_b128 v[82:85], v22, s[8:9] offset:48
	s_wait_dscnt 0x0
	v_mul_f64_e32 v[18:19], v[58:59], v[132:133]
	s_delay_alu instid0(VALU_DEP_1) | instskip(SKIP_1) | instid1(VALU_DEP_1)
	v_fma_f64 v[183:184], v[52:53], v[130:131], v[18:19]
	v_mul_f64_e32 v[18:19], v[52:53], v[132:133]
	v_fma_f64 v[148:149], v[58:59], v[130:131], -v[18:19]
	s_wait_loadcnt 0x1
	v_mul_f64_e32 v[18:19], v[60:61], v[64:65]
	s_delay_alu instid0(VALU_DEP_1)
	v_fma_f64 v[88:89], v[54:55], v[62:63], v[18:19]
	v_mul_f64_e32 v[18:19], v[54:55], v[64:65]
	ds_load_2addr_b64 v[52:55], v11 offset0:119 offset1:168
	v_fma_f64 v[225:226], v[60:61], v[62:63], -v[18:19]
	s_wait_dscnt 0x0
	v_mul_f64_e32 v[18:19], v[52:53], v[76:77]
	s_delay_alu instid0(VALU_DEP_1)
	v_fma_f64 v[130:131], v[48:49], v[74:75], v[18:19]
	v_mul_f64_e32 v[18:19], v[48:49], v[76:77]
	v_mov_b32_e32 v77, v223
	scratch_store_b64 off, v[130:131], off offset:240 ; 8-byte Folded Spill
	s_clause 0x1
	global_load_b128 v[58:61], v22, s[8:9] offset:64
	global_load_b128 v[62:65], v22, s[8:9] offset:80
	v_fma_f64 v[237:238], v[52:53], v[74:75], -v[18:19]
	v_mul_f64_e32 v[22:23], v[42:43], v[164:165]
	v_dual_mov_b32 v182, v93 :: v_dual_mov_b32 v181, v92
	s_wait_loadcnt 0x1
	v_mul_f64_e32 v[18:19], v[54:55], v[60:61]
	s_delay_alu instid0(VALU_DEP_1)
	v_fma_f64 v[128:129], v[50:51], v[58:59], v[18:19]
	v_mul_f64_e32 v[18:19], v[50:51], v[60:61]
	ds_load_2addr_b64 v[48:51], v223 offset0:125 offset1:174
	v_dual_mov_b32 v92, v237 :: v_dual_mov_b32 v93, v238
	s_wait_dscnt 0x0
	v_fma_f64 v[22:23], v[50:51], v[162:163], -v[22:23]
	v_fma_f64 v[112:113], v[54:55], v[58:59], -v[18:19]
	v_mul_f64_e32 v[18:19], v[50:51], v[164:165]
	s_delay_alu instid0(VALU_DEP_1) | instskip(SKIP_3) | instid1(VALU_DEP_1)
	v_fma_f64 v[18:19], v[42:43], v[162:163], v[18:19]
	v_dual_mov_b32 v163, v167 :: v_dual_and_b32 v42, 0xffff, v254
	scratch_store_b32 off, v42, off offset:140 ; 4-byte Folded Spill
	v_mul_u32_u24_e32 v42, 0x2493, v42
	v_lshrrev_b32_e32 v42, 16, v42
	s_delay_alu instid0(VALU_DEP_1) | instskip(NEXT) | instid1(VALU_DEP_1)
	v_sub_nc_u16 v43, v254, v42
	v_lshrrev_b16 v43, 1, v43
	s_delay_alu instid0(VALU_DEP_1) | instskip(NEXT) | instid1(VALU_DEP_1)
	v_add_nc_u16 v42, v43, v42
	v_lshrrev_b16 v42, 2, v42
	s_delay_alu instid0(VALU_DEP_1) | instskip(NEXT) | instid1(VALU_DEP_1)
	v_mul_lo_u16 v43, v42, 7
	v_sub_nc_u16 v43, v254, v43
	s_delay_alu instid0(VALU_DEP_1) | instskip(NEXT) | instid1(VALU_DEP_1)
	v_and_b32_e32 v43, 0xffff, v43
	v_mul_u32_u24_e32 v50, 6, v43
	s_delay_alu instid0(VALU_DEP_1)
	v_lshlrev_b32_e32 v66, 4, v50
	s_clause 0x1
	global_load_b128 v[50:53], v66, s[8:9]
	global_load_b128 v[58:61], v66, s[8:9] offset:16
	s_wait_loadcnt 0x1
	v_mul_f64_e32 v[54:55], v[48:49], v[52:53]
	s_delay_alu instid0(VALU_DEP_1) | instskip(SKIP_1) | instid1(VALU_DEP_1)
	v_fma_f64 v[94:95], v[40:41], v[50:51], v[54:55]
	v_mul_f64_e32 v[40:41], v[40:41], v[52:53]
	v_fma_f64 v[190:191], v[48:49], v[50:51], -v[40:41]
	ds_load_2addr_b64 v[48:51], v0 offset0:163 offset1:212
	s_wait_dscnt 0x0
	v_mul_f64_e32 v[40:41], v[48:49], v[72:73]
	s_delay_alu instid0(VALU_DEP_1) | instskip(SKIP_1) | instid1(VALU_DEP_1)
	v_fma_f64 v[150:151], v[44:45], v[70:71], v[40:41]
	v_mul_f64_e32 v[40:41], v[44:45], v[72:73]
	v_fma_f64 v[75:76], v[48:49], v[70:71], -v[40:41]
	s_wait_loadcnt 0x0
	v_mul_f64_e32 v[40:41], v[50:51], v[60:61]
	v_dual_mov_b32 v71, v220 :: v_dual_mov_b32 v70, v234
	s_delay_alu instid0(VALU_DEP_2)
	v_fma_f64 v[192:193], v[46:47], v[58:59], v[40:41]
	v_mul_f64_e32 v[40:41], v[46:47], v[60:61]
	ds_load_2addr_b64 v[44:47], v104 offset0:43 offset1:92
	v_dual_mov_b32 v104, v154 :: v_dual_mov_b32 v105, v155
	v_dual_mov_b32 v154, v248 :: v_dual_mov_b32 v155, v249
	v_fma_f64 v[194:195], v[50:51], v[58:59], -v[40:41]
	s_wait_dscnt 0x0
	v_mul_f64_e32 v[40:41], v[46:47], v[218:219]
	s_delay_alu instid0(VALU_DEP_1) | instskip(SKIP_1) | instid1(VALU_DEP_1)
	v_fma_f64 v[40:41], v[34:35], v[216:217], v[40:41]
	v_mul_f64_e32 v[34:35], v[34:35], v[218:219]
	v_fma_f64 v[34:35], v[46:47], v[216:217], -v[34:35]
	s_clause 0x1
	global_load_b128 v[46:49], v66, s[8:9] offset:32
	global_load_b128 v[50:53], v66, s[8:9] offset:48
	v_dual_mov_b32 v217, v186 :: v_dual_mov_b32 v216, v185
	s_wait_loadcnt 0x1
	v_mul_f64_e32 v[54:55], v[44:45], v[48:49]
	s_delay_alu instid0(VALU_DEP_1) | instskip(SKIP_1) | instid1(VALU_DEP_1)
	v_fma_f64 v[218:219], v[32:33], v[46:47], v[54:55]
	v_mul_f64_e32 v[32:33], v[32:33], v[48:49]
	v_fma_f64 v[235:236], v[44:45], v[46:47], -v[32:33]
	ds_load_2addr_b64 v[44:47], v224 offset0:81 offset1:130
	s_wait_dscnt 0x0
	v_mul_f64_e32 v[32:33], v[44:45], v[84:85]
	s_delay_alu instid0(VALU_DEP_1) | instskip(SKIP_3) | instid1(VALU_DEP_3)
	v_fma_f64 v[102:103], v[36:37], v[82:83], v[32:33]
	v_mul_f64_e32 v[32:33], v[36:37], v[84:85]
	v_mov_b32_e32 v164, v168
	v_dual_mov_b32 v168, v129 :: v_dual_mov_b32 v167, v128
	v_fma_f64 v[134:135], v[44:45], v[82:83], -v[32:33]
	s_wait_loadcnt 0x0
	v_mul_f64_e32 v[32:33], v[46:47], v[52:53]
	s_delay_alu instid0(VALU_DEP_1)
	v_fma_f64 v[82:83], v[38:39], v[50:51], v[32:33]
	v_mul_f64_e32 v[32:33], v[38:39], v[52:53]
	ds_load_2addr_b64 v[36:39], v220 offset0:89 offset1:138
	v_fma_f64 v[223:224], v[46:47], v[50:51], -v[32:33]
	s_clause 0x1
	global_load_b128 v[44:47], v66, s[8:9] offset:64
	global_load_b128 v[48:51], v66, s[8:9] offset:80
	s_wait_dscnt 0x0
	v_mul_f64_e32 v[32:33], v[38:39], v[230:231]
	s_clause 0x2
	scratch_load_b32 v72, off, off
	scratch_load_b32 v73, off, off offset:16
	scratch_load_b32 v74, off, off offset:32
	ds_load_b64 v[84:85], v251
	ds_load_b64 v[86:87], v234
	v_mov_b32_e32 v66, v173
	scratch_store_b32 off, v66, off offset:124 ; 4-byte Folded Spill
	v_fma_f64 v[32:33], v[26:27], v[228:229], v[32:33]
	v_mul_f64_e32 v[26:27], v[26:27], v[230:231]
	s_delay_alu instid0(VALU_DEP_1)
	v_fma_f64 v[26:27], v[38:39], v[228:229], -v[26:27]
	s_wait_loadcnt 0x4
	v_mul_f64_e32 v[38:39], v[36:37], v[46:47]
	s_wait_loadcnt 0x2
	ds_load_b64 v[254:255], v72
	s_wait_loadcnt 0x1
	ds_load_b64 v[10:11], v73
	s_wait_dscnt 0x0
	scratch_store_b64 off, v[10:11], off offset:224 ; 8-byte Folded Spill
	s_wait_loadcnt 0x0
	ds_load_b64 v[10:11], v74
	scratch_store_b32 off, v70, off offset:128 ; 4-byte Folded Spill
	v_fma_f64 v[227:228], v[24:25], v[44:45], v[38:39]
	v_mul_f64_e32 v[24:25], v[24:25], v[46:47]
	v_add_f64_e64 v[46:47], v[22:23], -v[14:15]
	s_wait_dscnt 0x0
	scratch_store_b64 off, v[10:11], off offset:216 ; 8-byte Folded Spill
	v_dual_mov_b32 v11, v9 :: v_dual_mov_b32 v10, v8
	v_dual_mov_b32 v230, v157 :: v_dual_mov_b32 v229, v156
	;; [unrolled: 1-line block ×3, first 2 shown]
	v_fma_f64 v[0:1], v[36:37], v[44:45], -v[24:25]
	ds_load_2addr_b64 v[36:39], v241 offset0:127 offset1:176
	s_wait_dscnt 0x0
	v_mul_f64_e32 v[24:25], v[36:37], v[64:65]
	s_delay_alu instid0(VALU_DEP_1)
	v_fma_f64 v[165:166], v[28:29], v[62:63], v[24:25]
	v_mul_f64_e32 v[24:25], v[28:29], v[64:65]
	v_add_f64_e32 v[28:29], v[18:19], v[6:7]
	scratch_store_b64 off, v[165:166], off offset:256 ; 8-byte Folded Spill
	v_fma_f64 v[231:232], v[36:37], v[62:63], -v[24:25]
	v_mul_f64_e32 v[24:25], v[38:39], v[50:51]
	ds_load_b64 v[62:63], v242
	v_fma_f64 v[220:221], v[30:31], v[48:49], v[24:25]
	v_mul_f64_e32 v[24:25], v[30:31], v[50:51]
	scratch_store_b64 off, v[227:228], off offset:264 ; 8-byte Folded Spill
	v_add_f64_e32 v[30:31], v[2:3], v[40:41]
	v_add_f64_e64 v[50:51], v[210:211], -v[26:27]
	scratch_store_b64 off, v[231:232], off offset:288 ; 8-byte Folded Spill
	v_add_f64_e64 v[2:3], v[40:41], -v[2:3]
	scratch_store_b64 off, v[220:221], off offset:272 ; 8-byte Folded Spill
	v_fma_f64 v[56:57], v[38:39], v[48:49], -v[24:25]
	v_and_b32_e32 v24, 0xffff, v118
	ds_load_b64 v[118:119], v173
	v_lshlrev_b32_e32 v25, 3, v252
	v_add_f64_e64 v[48:49], v[34:35], -v[4:5]
	scratch_store_b64 off, v[0:1], off offset:296 ; 8-byte Folded Spill
	v_mul_u32_u24_e32 v24, 0x188, v24
	v_dual_mov_b32 v252, v17 :: v_dual_mov_b32 v251, v16
	v_add_f64_e32 v[4:5], v[4:5], v[34:35]
	s_delay_alu instid0(VALU_DEP_3)
	v_add3_u32 v250, 0, v24, v25
	v_add_f64_e32 v[24:25], v[212:213], v[32:33]
	v_add_f64_e64 v[212:213], v[212:213], -v[32:33]
	scratch_store_b64 off, v[56:57], off offset:304 ; 8-byte Folded Spill
	global_wb scope:SCOPE_SE
	s_wait_storecnt_dscnt 0x0
	s_barrier_signal -1
	s_barrier_wait -1
	v_add_f64_e64 v[54:55], v[48:49], -v[46:47]
	v_add_f64_e32 v[52:53], v[48:49], v[46:47]
	v_add_f64_e64 v[48:49], v[50:51], -v[48:49]
	global_inv scope:SCOPE_SE
	scratch_load_b64 v[8:9], off, off offset:184 th:TH_LOAD_LU ; 8-byte Folded Reload
	v_add_f64_e32 v[36:37], v[28:29], v[24:25]
	v_add_f64_e64 v[38:39], v[24:25], -v[30:31]
	v_add_f64_e64 v[24:25], v[28:29], -v[24:25]
	v_mul_f64_e32 v[54:55], s[22:23], v[54:55]
	v_add_f64_e32 v[52:53], v[52:53], v[50:51]
	v_add_f64_e32 v[36:37], v[30:31], v[36:37]
	v_add_f64_e64 v[30:31], v[30:31], -v[28:29]
	v_mul_f64_e32 v[38:39], s[18:19], v[38:39]
	v_add_f64_e64 v[28:29], v[46:47], -v[50:51]
	v_add_f64_e64 v[46:47], v[136:137], -v[152:153]
	v_fma_f64 v[60:61], v[48:49], s[10:11], v[54:55]
	v_add_f64_e32 v[44:45], v[20:21], v[36:37]
	v_fma_f64 v[58:59], v[30:31], s[24:25], v[38:39]
	v_mul_f64_e32 v[30:31], s[24:25], v[30:31]
	s_delay_alu instid0(VALU_DEP_4) | instskip(NEXT) | instid1(VALU_DEP_4)
	v_fma_f64 v[60:61], v[52:53], s[0:1], v[60:61]
	v_fma_f64 v[36:37], v[36:37], s[20:21], v[44:45]
	s_delay_alu instid0(VALU_DEP_3)
	v_fma_f64 v[30:31], v[24:25], s[4:5], -v[30:31]
	v_fma_f64 v[24:25], v[24:25], s[14:15], -v[38:39]
	v_mul_f64_e32 v[38:39], s[2:3], v[28:29]
	v_fma_f64 v[28:29], v[28:29], s[2:3], -v[54:55]
	v_add_f64_e32 v[58:59], v[58:59], v[36:37]
	v_add_f64_e32 v[30:31], v[30:31], v[36:37]
	;; [unrolled: 1-line block ×3, first 2 shown]
	v_fma_f64 v[38:39], v[48:49], s[12:13], -v[38:39]
	v_fma_f64 v[28:29], v[52:53], s[0:1], v[28:29]
	v_add_f64_e64 v[48:49], v[214:215], -v[100:101]
	v_add_f64_e32 v[64:65], v[60:61], v[58:59]
	s_delay_alu instid0(VALU_DEP_4)
	v_fma_f64 v[36:37], v[52:53], s[0:1], v[38:39]
	ds_store_2addr_b64 v250, v[44:45], v[64:65] offset1:7
	v_add_f64_e64 v[44:45], v[30:31], -v[28:29]
	v_add_f64_e32 v[28:29], v[28:29], v[30:31]
	v_add_f64_e32 v[30:31], v[10:11], v[138:139]
	;; [unrolled: 1-line block ×3, first 2 shown]
	v_add_f64_e64 v[24:25], v[24:25], -v[36:37]
	ds_store_2addr_b64 v250, v[38:39], v[44:45] offset0:14 offset1:21
	ds_store_2addr_b64 v250, v[28:29], v[24:25] offset0:28 offset1:35
	v_add_f64_e64 v[24:25], v[58:59], -v[60:61]
	v_add_f64_e32 v[28:29], v[142:143], v[146:147]
	v_add_f64_e64 v[44:45], v[140:141], -v[144:145]
	ds_store_b64 v250, v[24:25] offset:336
	v_and_b32_e32 v24, 0xffff, v111
	v_lshlrev_b32_e32 v25, 3, v201
	v_add_f64_e64 v[52:53], v[46:47], -v[44:45]
	v_add_f64_e32 v[50:51], v[46:47], v[44:45]
	v_add_f64_e64 v[46:47], v[48:49], -v[46:47]
	v_mul_u32_u24_e32 v24, 0x188, v24
	s_delay_alu instid0(VALU_DEP_1) | instskip(SKIP_3) | instid1(VALU_DEP_3)
	v_add3_u32 v201, 0, v24, v25
	v_add_f64_e32 v[24:25], v[187:188], v[106:107]
	v_mul_f64_e32 v[52:53], s[22:23], v[52:53]
	v_add_f64_e32 v[50:51], v[50:51], v[48:49]
	v_add_f64_e32 v[36:37], v[28:29], v[24:25]
	v_add_f64_e64 v[38:39], v[24:25], -v[30:31]
	s_delay_alu instid0(VALU_DEP_4) | instskip(NEXT) | instid1(VALU_DEP_3)
	v_fma_f64 v[58:59], v[46:47], s[10:11], v[52:53]
	v_add_f64_e32 v[36:37], v[30:31], v[36:37]
	v_add_f64_e64 v[30:31], v[30:31], -v[28:29]
	s_delay_alu instid0(VALU_DEP_4) | instskip(NEXT) | instid1(VALU_DEP_4)
	v_mul_f64_e32 v[38:39], s[18:19], v[38:39]
	v_fma_f64 v[58:59], v[50:51], s[0:1], v[58:59]
	s_wait_loadcnt 0x0
	s_delay_alu instid0(VALU_DEP_4) | instskip(NEXT) | instid1(VALU_DEP_3)
	v_add_f64_e32 v[8:9], v[8:9], v[36:37]
	v_fma_f64 v[54:55], v[30:31], s[24:25], v[38:39]
	s_delay_alu instid0(VALU_DEP_2) | instskip(NEXT) | instid1(VALU_DEP_1)
	v_fma_f64 v[36:37], v[36:37], s[20:21], v[8:9]
	v_add_f64_e32 v[54:55], v[54:55], v[36:37]
	s_delay_alu instid0(VALU_DEP_1)
	v_add_f64_e32 v[60:61], v[58:59], v[54:55]
	ds_store_2addr_b64 v201, v[8:9], v[60:61] offset1:7
	v_add_f64_e64 v[8:9], v[28:29], -v[24:25]
	v_add_f64_e64 v[24:25], v[44:45], -v[48:49]
	v_mul_f64_e32 v[28:29], s[24:25], v[30:31]
	v_add_f64_e64 v[44:45], v[122:123], -v[246:247]
	s_delay_alu instid0(VALU_DEP_3) | instskip(NEXT) | instid1(VALU_DEP_3)
	v_mul_f64_e32 v[30:31], s[2:3], v[24:25]
	v_fma_f64 v[28:29], v[8:9], s[4:5], -v[28:29]
	v_fma_f64 v[8:9], v[8:9], s[14:15], -v[38:39]
	v_fma_f64 v[24:25], v[24:25], s[2:3], -v[52:53]
	s_delay_alu instid0(VALU_DEP_4) | instskip(NEXT) | instid1(VALU_DEP_4)
	v_fma_f64 v[30:31], v[46:47], s[12:13], -v[30:31]
	v_add_f64_e32 v[28:29], v[28:29], v[36:37]
	s_delay_alu instid0(VALU_DEP_4) | instskip(NEXT) | instid1(VALU_DEP_4)
	v_add_f64_e32 v[8:9], v[8:9], v[36:37]
	v_fma_f64 v[24:25], v[50:51], s[0:1], v[24:25]
	s_delay_alu instid0(VALU_DEP_4) | instskip(NEXT) | instid1(VALU_DEP_2)
	v_fma_f64 v[30:31], v[50:51], s[0:1], v[30:31]
	v_add_f64_e64 v[38:39], v[28:29], -v[24:25]
	v_add_f64_e32 v[24:25], v[24:25], v[28:29]
	s_delay_alu instid0(VALU_DEP_3)
	v_add_f64_e32 v[36:37], v[30:31], v[8:9]
	v_add_f64_e64 v[8:9], v[8:9], -v[30:31]
	ds_store_2addr_b64 v201, v[36:37], v[38:39] offset0:14 offset1:21
	ds_store_2addr_b64 v201, v[24:25], v[8:9] offset0:28 offset1:35
	v_add_f64_e64 v[8:9], v[54:55], -v[58:59]
	v_add_f64_e64 v[38:39], v[204:205], -v[120:121]
	v_dual_mov_b32 v120, v125 :: v_dual_mov_b32 v121, v126
	v_dual_mov_b32 v127, v109 :: v_dual_mov_b32 v126, v108
	;; [unrolled: 1-line block ×3, first 2 shown]
	s_delay_alu instid0(VALU_DEP_3)
	v_add_f64_e64 v[46:47], v[114:115], -v[120:121]
	v_dual_mov_b32 v174, v89 :: v_dual_mov_b32 v91, v76
	v_mov_b32_e32 v90, v75
	v_add_f64_e32 v[108:109], v[210:211], v[26:27]
	v_add_f64_e32 v[210:211], v[22:23], v[14:15]
	v_mov_b32_e32 v173, v88
	ds_store_b64 v201, v[8:9] offset:336
	v_and_b32_e32 v8, 0xffff, v98
	v_lshlrev_b32_e32 v9, 3, v99
	v_add_f64_e64 v[50:51], v[44:45], -v[38:39]
	v_add_f64_e32 v[48:49], v[44:45], v[38:39]
	s_delay_alu instid0(VALU_DEP_4) | instskip(SKIP_1) | instid1(VALU_DEP_2)
	v_mul_u32_u24_e32 v8, 0x188, v8
	v_add_f64_e64 v[44:45], v[46:47], -v[44:45]
	v_add3_u32 v124, 0, v8, v9
	s_clause 0x1
	scratch_load_b64 v[8:9], off, off offset:84
	scratch_load_b64 v[20:21], off, off offset:100
	v_mul_f64_e32 v[50:51], s[22:23], v[50:51]
	v_add_f64_e32 v[48:49], v[48:49], v[46:47]
	s_delay_alu instid0(VALU_DEP_2) | instskip(NEXT) | instid1(VALU_DEP_1)
	v_fma_f64 v[54:55], v[44:45], s[10:11], v[50:51]
	v_fma_f64 v[54:55], v[48:49], s[0:1], v[54:55]
	s_wait_loadcnt 0x0
	v_add_f64_e32 v[8:9], v[20:21], v[8:9]
	s_clause 0x1
	scratch_load_b64 v[20:21], off, off offset:68
	scratch_load_b64 v[24:25], off, off offset:108
	s_wait_loadcnt 0x0
	v_add_f64_e32 v[24:25], v[20:21], v[24:25]
	s_clause 0x3
	scratch_load_b64 v[20:21], off, off offset:36
	scratch_load_b64 v[28:29], off, off offset:52
	scratch_load_b64 v[16:17], off, off offset:176 th:TH_LOAD_LU
	scratch_load_b64 v[88:89], off, off offset:208 th:TH_LOAD_LU
	v_add_f64_e32 v[30:31], v[24:25], v[8:9]
	s_wait_loadcnt 0x2
	v_add_f64_e32 v[28:29], v[28:29], v[20:21]
	s_delay_alu instid0(VALU_DEP_1) | instskip(SKIP_3) | instid1(VALU_DEP_4)
	v_add_f64_e32 v[30:31], v[28:29], v[30:31]
	v_add_f64_e64 v[36:37], v[8:9], -v[28:29]
	v_add_f64_e64 v[28:29], v[28:29], -v[24:25]
	;; [unrolled: 1-line block ×3, first 2 shown]
	v_add_f64_e32 v[12:13], v[12:13], v[30:31]
	s_delay_alu instid0(VALU_DEP_4) | instskip(NEXT) | instid1(VALU_DEP_4)
	v_mul_f64_e32 v[36:37], s[18:19], v[36:37]
	v_mul_f64_e32 v[24:25], s[24:25], v[28:29]
	s_delay_alu instid0(VALU_DEP_3) | instskip(NEXT) | instid1(VALU_DEP_3)
	v_fma_f64 v[30:31], v[30:31], s[20:21], v[12:13]
	v_fma_f64 v[52:53], v[28:29], s[24:25], v[36:37]
	s_delay_alu instid0(VALU_DEP_3) | instskip(SKIP_1) | instid1(VALU_DEP_3)
	v_fma_f64 v[24:25], v[8:9], s[4:5], -v[24:25]
	v_fma_f64 v[8:9], v[8:9], s[14:15], -v[36:37]
	v_add_f64_e32 v[52:53], v[52:53], v[30:31]
	s_delay_alu instid0(VALU_DEP_3) | instskip(NEXT) | instid1(VALU_DEP_3)
	v_add_f64_e32 v[24:25], v[24:25], v[30:31]
	v_add_f64_e32 v[8:9], v[8:9], v[30:31]
	s_delay_alu instid0(VALU_DEP_3) | instskip(SKIP_3) | instid1(VALU_DEP_2)
	v_add_f64_e32 v[58:59], v[54:55], v[52:53]
	ds_store_2addr_b64 v124, v[12:13], v[58:59] offset1:7
	v_add_f64_e64 v[12:13], v[38:39], -v[46:47]
	v_add_f64_e64 v[38:39], v[244:245], -v[126:127]
	v_mul_f64_e32 v[28:29], s[2:3], v[12:13]
	v_fma_f64 v[12:13], v[12:13], s[2:3], -v[50:51]
	s_delay_alu instid0(VALU_DEP_2) | instskip(NEXT) | instid1(VALU_DEP_2)
	v_fma_f64 v[28:29], v[44:45], s[12:13], -v[28:29]
	v_fma_f64 v[12:13], v[48:49], s[0:1], v[12:13]
	v_add_f64_e64 v[44:45], v[116:117], -v[160:161]
	v_dual_mov_b32 v162, v151 :: v_dual_mov_b32 v161, v150
	v_dual_mov_b32 v150, v225 :: v_dual_mov_b32 v151, v226
	v_fma_f64 v[28:29], v[48:49], s[0:1], v[28:29]
	v_add_f64_e64 v[36:37], v[24:25], -v[12:13]
	v_add_f64_e32 v[12:13], v[12:13], v[24:25]
	v_add_f64_e32 v[24:25], v[251:252], v[229:230]
	s_delay_alu instid0(VALU_DEP_4)
	v_add_f64_e32 v[30:31], v[28:29], v[8:9]
	v_add_f64_e64 v[8:9], v[8:9], -v[28:29]
	ds_store_2addr_b64 v124, v[30:31], v[36:37] offset0:14 offset1:21
	ds_store_2addr_b64 v124, v[12:13], v[8:9] offset0:28 offset1:35
	scratch_load_b64 v[12:13], off, off offset:116 ; 8-byte Folded Reload
	v_add_f64_e64 v[8:9], v[52:53], -v[54:55]
	v_add_f64_e64 v[36:37], v[177:178], -v[169:170]
	ds_store_b64 v124, v[8:9] offset:336
	v_and_b32_e32 v8, 0xffff, v80
	v_lshlrev_b32_e32 v9, 3, v81
	v_add_f64_e64 v[48:49], v[38:39], -v[36:37]
	v_add_f64_e32 v[46:47], v[38:39], v[36:37]
	v_add_f64_e64 v[38:39], v[44:45], -v[38:39]
	v_mul_u32_u24_e32 v8, 0x188, v8
	s_delay_alu instid0(VALU_DEP_1)
	v_add3_u32 v125, 0, v8, v9
	v_add_f64_e32 v[8:9], v[216:217], v[158:159]
	v_mov_b32_e32 v160, v95
	v_dual_mov_b32 v159, v94 :: v_dual_add_nc_u32 v158, 0x800, v242
	v_dual_mov_b32 v94, v223 :: v_dual_mov_b32 v95, v224
	v_mul_f64_e32 v[48:49], s[22:23], v[48:49]
	v_add_f64_e32 v[46:47], v[46:47], v[44:45]
	v_add_f64_e64 v[30:31], v[8:9], -v[24:25]
	s_delay_alu instid0(VALU_DEP_3) | instskip(NEXT) | instid1(VALU_DEP_2)
	v_fma_f64 v[52:53], v[38:39], s[10:11], v[48:49]
	v_mul_f64_e32 v[30:31], s[18:19], v[30:31]
	s_delay_alu instid0(VALU_DEP_2) | instskip(SKIP_2) | instid1(VALU_DEP_1)
	v_fma_f64 v[52:53], v[46:47], s[0:1], v[52:53]
	s_wait_loadcnt 0x0
	v_add_f64_e32 v[12:13], v[202:203], v[12:13]
	v_add_f64_e32 v[28:29], v[12:13], v[8:9]
	v_add_f64_e64 v[8:9], v[12:13], -v[8:9]
	s_delay_alu instid0(VALU_DEP_2) | instskip(SKIP_3) | instid1(VALU_DEP_4)
	v_add_f64_e32 v[28:29], v[24:25], v[28:29]
	v_add_f64_e64 v[24:25], v[24:25], -v[12:13]
	v_add_f64_e64 v[12:13], v[36:37], -v[44:45]
	;; [unrolled: 1-line block ×3, first 2 shown]
	v_add_f64_e32 v[20:21], v[16:17], v[28:29]
	s_delay_alu instid0(VALU_DEP_4) | instskip(SKIP_2) | instid1(VALU_DEP_1)
	v_fma_f64 v[50:51], v[24:25], s[24:25], v[30:31]
	scratch_load_b64 v[16:17], off, off offset:168 th:TH_LOAD_LU ; 8-byte Folded Reload
	v_fma_f64 v[28:29], v[28:29], s[20:21], v[20:21]
	v_add_f64_e32 v[50:51], v[50:51], v[28:29]
	s_delay_alu instid0(VALU_DEP_1) | instskip(SKIP_4) | instid1(VALU_DEP_3)
	v_add_f64_e32 v[54:55], v[52:53], v[50:51]
	ds_store_2addr_b64 v125, v[20:21], v[54:55] offset1:7
	v_mul_f64_e32 v[20:21], s[24:25], v[24:25]
	v_mul_f64_e32 v[24:25], s[2:3], v[12:13]
	v_fma_f64 v[12:13], v[12:13], s[2:3], -v[48:49]
	v_fma_f64 v[20:21], v[8:9], s[4:5], -v[20:21]
	;; [unrolled: 1-line block ×3, first 2 shown]
	s_delay_alu instid0(VALU_DEP_4) | instskip(NEXT) | instid1(VALU_DEP_4)
	v_fma_f64 v[24:25], v[38:39], s[12:13], -v[24:25]
	v_fma_f64 v[12:13], v[46:47], s[0:1], v[12:13]
	v_add_f64_e64 v[38:39], v[179:180], -v[171:172]
	v_add_f64_e32 v[20:21], v[20:21], v[28:29]
	v_add_f64_e32 v[8:9], v[8:9], v[28:29]
	v_fma_f64 v[24:25], v[46:47], s[0:1], v[24:25]
	s_delay_alu instid0(VALU_DEP_3) | instskip(SKIP_1) | instid1(VALU_DEP_3)
	v_add_f64_e64 v[30:31], v[20:21], -v[12:13]
	v_add_f64_e32 v[12:13], v[12:13], v[20:21]
	v_add_f64_e32 v[28:29], v[24:25], v[8:9]
	v_add_f64_e64 v[8:9], v[8:9], -v[24:25]
	v_add_f64_e32 v[20:21], v[183:184], v[185:186]
	ds_store_2addr_b64 v125, v[28:29], v[30:31] offset0:14 offset1:21
	ds_store_2addr_b64 v125, v[12:13], v[8:9] offset0:28 offset1:35
	v_add_f64_e64 v[8:9], v[50:51], -v[52:53]
	v_add_f64_e32 v[12:13], v[206:207], v[130:131]
	v_add_f64_e64 v[30:31], v[104:105], -v[92:93]
	ds_store_b64 v125, v[8:9] offset:336
	v_and_b32_e32 v8, 0xffff, v68
	v_lshlrev_b32_e32 v9, 3, v69
	v_add_f64_e64 v[46:47], v[36:37], -v[30:31]
	v_add_f64_e32 v[44:45], v[36:37], v[30:31]
	v_add_f64_e64 v[36:37], v[38:39], -v[36:37]
	v_mul_u32_u24_e32 v8, 0x188, v8
	s_delay_alu instid0(VALU_DEP_1) | instskip(SKIP_3) | instid1(VALU_DEP_3)
	v_add3_u32 v132, 0, v8, v9
	v_add_f64_e32 v[8:9], v[175:176], v[181:182]
	v_mul_f64_e32 v[46:47], s[22:23], v[46:47]
	v_add_f64_e32 v[44:45], v[44:45], v[38:39]
	v_add_f64_e32 v[24:25], v[12:13], v[8:9]
	v_add_f64_e64 v[28:29], v[8:9], -v[20:21]
	v_add_f64_e64 v[8:9], v[12:13], -v[8:9]
	v_fma_f64 v[50:51], v[36:37], s[10:11], v[46:47]
	s_delay_alu instid0(VALU_DEP_4)
	v_add_f64_e32 v[24:25], v[20:21], v[24:25]
	v_add_f64_e64 v[20:21], v[20:21], -v[12:13]
	v_mul_f64_e32 v[28:29], s[18:19], v[28:29]
	v_add_f64_e64 v[12:13], v[30:31], -v[38:39]
	v_add_f64_e64 v[30:31], v[90:91], -v[112:113]
	;; [unrolled: 1-line block ×3, first 2 shown]
	v_mov_b32_e32 v231, v158
	v_add_f64_e64 v[232:233], v[212:213], -v[2:3]
	v_fma_f64 v[50:51], v[44:45], s[0:1], v[50:51]
	s_wait_loadcnt 0x0
	v_add_f64_e32 v[16:17], v[16:17], v[24:25]
	v_fma_f64 v[48:49], v[20:21], s[24:25], v[28:29]
	s_delay_alu instid0(VALU_DEP_2) | instskip(NEXT) | instid1(VALU_DEP_1)
	v_fma_f64 v[24:25], v[24:25], s[20:21], v[16:17]
	v_add_f64_e32 v[48:49], v[48:49], v[24:25]
	s_delay_alu instid0(VALU_DEP_1) | instskip(SKIP_4) | instid1(VALU_DEP_3)
	v_add_f64_e32 v[52:53], v[50:51], v[48:49]
	ds_store_2addr_b64 v132, v[16:17], v[52:53] offset1:7
	v_mul_f64_e32 v[16:17], s[24:25], v[20:21]
	v_mul_f64_e32 v[20:21], s[2:3], v[12:13]
	v_fma_f64 v[12:13], v[12:13], s[2:3], -v[46:47]
	v_fma_f64 v[16:17], v[8:9], s[4:5], -v[16:17]
	;; [unrolled: 1-line block ×3, first 2 shown]
	s_delay_alu instid0(VALU_DEP_4) | instskip(NEXT) | instid1(VALU_DEP_4)
	v_fma_f64 v[20:21], v[36:37], s[12:13], -v[20:21]
	v_fma_f64 v[12:13], v[44:45], s[0:1], v[12:13]
	s_delay_alu instid0(VALU_DEP_4) | instskip(NEXT) | instid1(VALU_DEP_4)
	v_add_f64_e32 v[16:17], v[16:17], v[24:25]
	v_add_f64_e32 v[8:9], v[8:9], v[24:25]
	s_delay_alu instid0(VALU_DEP_4) | instskip(NEXT) | instid1(VALU_DEP_3)
	v_fma_f64 v[20:21], v[44:45], s[0:1], v[20:21]
	v_add_f64_e64 v[28:29], v[16:17], -v[12:13]
	v_add_f64_e32 v[12:13], v[12:13], v[16:17]
	s_delay_alu instid0(VALU_DEP_3)
	v_add_f64_e32 v[24:25], v[20:21], v[8:9]
	v_add_f64_e64 v[8:9], v[8:9], -v[20:21]
	ds_store_2addr_b64 v132, v[24:25], v[28:29] offset0:14 offset1:21
	ds_store_2addr_b64 v132, v[12:13], v[8:9] offset0:28 offset1:35
	v_add_f64_e64 v[8:9], v[48:49], -v[50:51]
	scratch_load_b64 v[28:29], off, off offset:160 th:TH_LOAD_LU ; 8-byte Folded Reload
	v_add_f64_e32 v[12:13], v[161:162], v[167:168]
	ds_store_b64 v132, v[8:9] offset:336
	v_and_b32_e32 v8, 0xffff, v97
	v_lshlrev_b32_e32 v9, 3, v222
	v_add_f64_e64 v[222:223], v[4:5], -v[210:211]
	s_delay_alu instid0(VALU_DEP_3) | instskip(NEXT) | instid1(VALU_DEP_1)
	v_mul_u32_u24_e32 v8, 0x188, v8
	v_add3_u32 v133, 0, v8, v9
	v_add_f64_e32 v[8:9], v[163:164], v[165:166]
	v_dual_mov_b32 v166, v103 :: v_dual_mov_b32 v165, v102
	v_dual_mov_b32 v102, v235 :: v_dual_mov_b32 v103, v236
	v_add_f64_e64 v[36:37], v[134:135], -v[150:151]
	s_delay_alu instid0(VALU_DEP_3) | instskip(SKIP_1) | instid1(VALU_DEP_3)
	v_add_f64_e32 v[16:17], v[173:174], v[165:166]
	v_add_f64_e32 v[20:21], v[12:13], v[8:9]
	v_add_f64_e64 v[46:47], v[36:37], -v[30:31]
	v_add_f64_e32 v[44:45], v[36:37], v[30:31]
	s_delay_alu instid0(VALU_DEP_4)
	v_add_f64_e64 v[24:25], v[8:9], -v[16:17]
	v_add_f64_e64 v[36:37], v[38:39], -v[36:37]
	;; [unrolled: 1-line block ×3, first 2 shown]
	v_add_f64_e32 v[20:21], v[16:17], v[20:21]
	v_add_f64_e64 v[16:17], v[16:17], -v[12:13]
	v_add_f64_e64 v[12:13], v[30:31], -v[38:39]
	;; [unrolled: 1-line block ×3, first 2 shown]
	v_mul_f64_e32 v[46:47], s[22:23], v[46:47]
	v_add_f64_e32 v[44:45], v[44:45], v[38:39]
	v_mul_f64_e32 v[24:25], s[18:19], v[24:25]
	v_add_f64_e64 v[38:39], v[190:191], -v[56:57]
	s_delay_alu instid0(VALU_DEP_4) | instskip(NEXT) | instid1(VALU_DEP_3)
	v_fma_f64 v[50:51], v[36:37], s[10:11], v[46:47]
	v_fma_f64 v[48:49], v[16:17], s[24:25], v[24:25]
	v_mul_f64_e32 v[16:17], s[24:25], v[16:17]
	s_delay_alu instid0(VALU_DEP_3) | instskip(NEXT) | instid1(VALU_DEP_2)
	v_fma_f64 v[50:51], v[44:45], s[0:1], v[50:51]
	v_fma_f64 v[16:17], v[8:9], s[4:5], -v[16:17]
	v_fma_f64 v[8:9], v[8:9], s[14:15], -v[24:25]
	v_mul_f64_e32 v[24:25], s[2:3], v[12:13]
	v_fma_f64 v[12:13], v[12:13], s[2:3], -v[46:47]
	s_delay_alu instid0(VALU_DEP_2) | instskip(NEXT) | instid1(VALU_DEP_2)
	v_fma_f64 v[24:25], v[36:37], s[12:13], -v[24:25]
	v_fma_f64 v[12:13], v[44:45], s[0:1], v[12:13]
	v_add_f64_e64 v[36:37], v[94:95], -v[102:103]
	s_wait_loadcnt 0x0
	v_add_f64_e32 v[28:29], v[28:29], v[20:21]
	s_delay_alu instid0(VALU_DEP_1) | instskip(NEXT) | instid1(VALU_DEP_1)
	v_fma_f64 v[20:21], v[20:21], s[20:21], v[28:29]
	v_add_f64_e32 v[48:49], v[48:49], v[20:21]
	v_add_f64_e32 v[16:17], v[16:17], v[20:21]
	;; [unrolled: 1-line block ×3, first 2 shown]
	v_fma_f64 v[20:21], v[44:45], s[0:1], v[24:25]
	v_add_f64_e64 v[44:45], v[36:37], -v[30:31]
	v_add_f64_e32 v[52:53], v[50:51], v[48:49]
	s_delay_alu instid0(VALU_DEP_3) | instskip(SKIP_1) | instid1(VALU_DEP_4)
	v_add_f64_e32 v[24:25], v[20:21], v[8:9]
	v_add_f64_e64 v[8:9], v[8:9], -v[20:21]
	v_mul_f64_e32 v[44:45], s[22:23], v[44:45]
	ds_store_2addr_b64 v133, v[28:29], v[52:53] offset1:7
	v_add_f64_e64 v[28:29], v[16:17], -v[12:13]
	v_add_f64_e32 v[12:13], v[12:13], v[16:17]
	ds_store_2addr_b64 v133, v[24:25], v[28:29] offset0:14 offset1:21
	scratch_load_b64 v[28:29], off, off offset:152 th:TH_LOAD_LU ; 8-byte Folded Reload
	ds_store_2addr_b64 v133, v[12:13], v[8:9] offset0:28 offset1:35
	v_add_f64_e64 v[8:9], v[48:49], -v[50:51]
	v_add_f64_e32 v[12:13], v[192:193], v[227:228]
	v_mov_b32_e32 v228, v77
	ds_store_b64 v133, v[8:9] offset:336
	v_and_b32_e32 v8, 0xffff, v42
	v_lshlrev_b32_e32 v9, 3, v43
	v_add_f64_e32 v[42:43], v[36:37], v[30:31]
	v_add_f64_e64 v[36:37], v[38:39], -v[36:37]
	s_delay_alu instid0(VALU_DEP_4) | instskip(NEXT) | instid1(VALU_DEP_1)
	v_mul_u32_u24_e32 v8, 0x188, v8
	v_add3_u32 v111, 0, v8, v9
	v_add_f64_e32 v[8:9], v[159:160], v[220:221]
	v_add_f64_e64 v[220:221], v[18:19], -v[6:7]
	v_add_f64_e64 v[6:7], v[108:109], -v[4:5]
	v_add_f64_e32 v[42:43], v[42:43], v[38:39]
	v_fma_f64 v[48:49], v[36:37], s[10:11], v[44:45]
	v_add_f64_e32 v[20:21], v[12:13], v[8:9]
	s_delay_alu instid0(VALU_DEP_4) | instskip(SKIP_1) | instid1(VALU_DEP_4)
	v_mul_f64_e32 v[226:227], s[18:19], v[6:7]
	v_add_f64_e64 v[6:7], v[2:3], -v[220:221]
	v_fma_f64 v[48:49], v[42:43], s[0:1], v[48:49]
	s_delay_alu instid0(VALU_DEP_2) | instskip(SKIP_3) | instid1(VALU_DEP_2)
	v_mul_f64_e32 v[236:237], s[22:23], v[6:7]
	v_add_nc_u32_e32 v7, 0x4000, v242
	v_add_f64_e32 v[16:17], v[218:219], v[156:157]
	v_add_nc_u32_e32 v6, 0x1800, v242
	v_add_f64_e32 v[20:21], v[16:17], v[20:21]
	v_add_f64_e64 v[24:25], v[8:9], -v[16:17]
	v_add_f64_e64 v[16:17], v[16:17], -v[12:13]
	;; [unrolled: 1-line block ×4, first 2 shown]
	s_delay_alu instid0(VALU_DEP_4) | instskip(NEXT) | instid1(VALU_DEP_1)
	v_mul_f64_e32 v[24:25], s[18:19], v[24:25]
	v_fma_f64 v[46:47], v[16:17], s[24:25], v[24:25]
	v_mul_f64_e32 v[16:17], s[24:25], v[16:17]
	s_delay_alu instid0(VALU_DEP_1)
	v_fma_f64 v[16:17], v[8:9], s[4:5], -v[16:17]
	v_fma_f64 v[8:9], v[8:9], s[14:15], -v[24:25]
	v_mul_f64_e32 v[24:25], s[2:3], v[12:13]
	v_fma_f64 v[12:13], v[12:13], s[2:3], -v[44:45]
	s_wait_loadcnt 0x0
	v_add_f64_e32 v[28:29], v[28:29], v[20:21]
	s_delay_alu instid0(VALU_DEP_3) | instskip(NEXT) | instid1(VALU_DEP_3)
	v_fma_f64 v[24:25], v[36:37], s[12:13], -v[24:25]
	v_fma_f64 v[12:13], v[42:43], s[0:1], v[12:13]
	s_delay_alu instid0(VALU_DEP_3) | instskip(NEXT) | instid1(VALU_DEP_1)
	v_fma_f64 v[20:21], v[20:21], s[20:21], v[28:29]
	v_add_f64_e32 v[46:47], v[46:47], v[20:21]
	v_add_f64_e32 v[16:17], v[16:17], v[20:21]
	;; [unrolled: 1-line block ×3, first 2 shown]
	v_fma_f64 v[20:21], v[42:43], s[0:1], v[24:25]
	s_delay_alu instid0(VALU_DEP_4) | instskip(SKIP_1) | instid1(VALU_DEP_3)
	v_add_f64_e64 v[0:1], v[46:47], -v[48:49]
	v_add_f64_e32 v[50:51], v[48:49], v[46:47]
	v_add_f64_e32 v[24:25], v[20:21], v[8:9]
	v_add_f64_e64 v[8:9], v[8:9], -v[20:21]
	ds_store_b64 v111, v[0:1] offset:336
	v_add_f64_e32 v[0:1], v[210:211], v[108:109]
	ds_store_2addr_b64 v111, v[28:29], v[50:51] offset1:7
	v_add_f64_e64 v[28:29], v[16:17], -v[12:13]
	v_add_f64_e32 v[12:13], v[12:13], v[16:17]
	v_add_f64_e32 v[0:1], v[4:5], v[0:1]
	;; [unrolled: 1-line block ×3, first 2 shown]
	ds_store_2addr_b64 v111, v[24:25], v[28:29] offset0:14 offset1:21
	ds_store_2addr_b64 v111, v[12:13], v[8:9] offset0:28 offset1:35
	global_wb scope:SCOPE_SE
	s_wait_dscnt 0x0
	s_barrier_signal -1
	s_barrier_wait -1
	global_inv scope:SCOPE_SE
	ds_load_2addr_b64 v[80:83], v158 offset0:87 offset1:136
	v_add_f64_e32 v[224:225], v[62:63], v[0:1]
	v_add_f64_e32 v[234:235], v[4:5], v[212:213]
	v_add_nc_u32_e32 v5, 0x2800, v242
	v_add_nc_u32_e32 v4, 0x3000, v242
	s_delay_alu instid0(VALU_DEP_4) | instskip(SKIP_1) | instid1(VALU_DEP_1)
	v_fma_f64 v[238:239], v[0:1], s[20:21], v[224:225]
	v_fma_f64 v[0:1], v[222:223], s[24:25], v[226:227]
	v_add_f64_e32 v[240:241], v[0:1], v[238:239]
	v_fma_f64 v[0:1], v[232:233], s[10:11], v[236:237]
	s_delay_alu instid0(VALU_DEP_1)
	v_fma_f64 v[248:249], v[234:235], s[0:1], v[0:1]
	ds_load_b64 v[0:1], v242
	s_wait_dscnt 0x0
	scratch_store_b64 off, v[0:1], off offset:200 ; 8-byte Folded Spill
	ds_load_b64 v[0:1], v66
	v_add_f64_e64 v[98:99], v[240:241], -v[248:249]
	s_wait_dscnt 0x0
	scratch_store_b64 off, v[0:1], off offset:192 ; 8-byte Folded Spill
	ds_load_b64 v[0:1], v67
	s_wait_dscnt 0x0
	scratch_store_b64 off, v[0:1], off offset:184 ; 8-byte Folded Spill
	ds_load_b64 v[0:1], v70
	;; [unrolled: 3-line block ×5, first 2 shown]
	s_wait_dscnt 0x0
	scratch_store_b64 off, v[0:1], off offset:152 ; 8-byte Folded Spill
	ds_load_2addr_b64 v[24:27], v77 offset0:125 offset1:174
	ds_load_2addr_b64 v[76:79], v243 offset0:5 offset1:54
	;; [unrolled: 1-line block ×7, first 2 shown]
	v_mov_b32_e32 v253, v189
	v_add_nc_u32_e32 v5, 0x3800, v242
	ds_load_2addr_b64 v[0:3], v7 offset0:59 offset1:108
	ds_load_2addr_b64 v[68:71], v158 offset0:185 offset1:234
	;; [unrolled: 1-line block ×3, first 2 shown]
	v_mov_b32_e32 v158, v228
	ds_load_2addr_b64 v[60:63], v5 offset0:21 offset1:70
	ds_load_2addr_b64 v[56:59], v6 offset0:65 offset1:114
	;; [unrolled: 1-line block ×6, first 2 shown]
	v_mov_b32_e32 v228, v243
	ds_load_2addr_b64 v[36:39], v5 offset0:119 offset1:168
	ds_load_2addr_b64 v[28:31], v6 offset0:163 offset1:212
	;; [unrolled: 1-line block ×3, first 2 shown]
	v_mov_b32_e32 v243, v4
	ds_load_2addr_b64 v[4:7], v208 offset0:127 offset1:176
	global_wb scope:SCOPE_SE
	s_wait_storecnt_dscnt 0x0
	s_barrier_signal -1
	s_barrier_wait -1
	global_inv scope:SCOPE_SE
	ds_store_2addr_b64 v250, v[224:225], v[98:99] offset1:7
	v_add_f64_e64 v[98:99], v[210:211], -v[108:109]
	v_add_f64_e64 v[108:109], v[220:221], -v[212:213]
	v_mul_f64_e32 v[210:211], s[24:25], v[222:223]
	v_add_f64_e32 v[96:97], v[214:215], v[100:101]
	v_add_f64_e64 v[100:101], v[187:188], -v[106:107]
	v_add_f64_e64 v[106:107], v[142:143], -v[146:147]
	scratch_load_b64 v[8:9], off, off offset:248 th:TH_LOAD_LU ; 8-byte Folded Reload
	v_mul_f64_e32 v[212:213], s[2:3], v[108:109]
	v_fma_f64 v[210:211], v[98:99], s[4:5], -v[210:211]
	v_fma_f64 v[98:99], v[98:99], s[14:15], -v[226:227]
	;; [unrolled: 1-line block ×3, first 2 shown]
	s_delay_alu instid0(VALU_DEP_4) | instskip(NEXT) | instid1(VALU_DEP_4)
	v_fma_f64 v[212:213], v[232:233], s[12:13], -v[212:213]
	v_add_f64_e32 v[210:211], v[210:211], v[238:239]
	s_delay_alu instid0(VALU_DEP_4) | instskip(NEXT) | instid1(VALU_DEP_4)
	v_add_f64_e32 v[98:99], v[98:99], v[238:239]
	v_fma_f64 v[108:109], v[234:235], s[0:1], v[108:109]
	s_delay_alu instid0(VALU_DEP_4) | instskip(NEXT) | instid1(VALU_DEP_2)
	v_fma_f64 v[212:213], v[234:235], s[0:1], v[212:213]
	v_add_f64_e32 v[222:223], v[108:109], v[210:211]
	v_add_f64_e64 v[108:109], v[210:211], -v[108:109]
	s_delay_alu instid0(VALU_DEP_3)
	v_add_f64_e64 v[220:221], v[98:99], -v[212:213]
	v_add_f64_e32 v[98:99], v[212:213], v[98:99]
	ds_store_2addr_b64 v250, v[220:221], v[222:223] offset0:14 offset1:21
	ds_store_2addr_b64 v250, v[108:109], v[98:99] offset0:28 offset1:35
	v_add_f64_e32 v[98:99], v[248:249], v[240:241]
	v_add_f64_e32 v[108:109], v[152:153], v[136:137]
	v_add_f64_e64 v[136:137], v[138:139], -v[10:11]
	ds_store_b64 v250, v[98:99] offset:336
	v_add_f64_e32 v[98:99], v[140:141], v[144:145]
	v_add_f64_e64 v[140:141], v[96:97], -v[108:109]
	v_add_f64_e64 v[144:145], v[136:137], -v[106:107]
	v_add_f64_e32 v[142:143], v[136:137], v[106:107]
	v_add_f64_e64 v[136:137], v[100:101], -v[136:137]
	v_add_f64_e32 v[138:139], v[98:99], v[96:97]
	v_mul_f64_e32 v[140:141], s[18:19], v[140:141]
	v_mul_f64_e32 v[144:145], s[22:23], v[144:145]
	v_add_f64_e64 v[96:97], v[98:99], -v[96:97]
	v_add_f64_e32 v[142:143], v[142:143], v[100:101]
	v_add_f64_e32 v[138:139], v[108:109], v[138:139]
	v_add_f64_e64 v[108:109], v[108:109], -v[98:99]
	v_add_f64_e64 v[98:99], v[106:107], -v[100:101]
	v_fma_f64 v[210:211], v[136:137], s[10:11], v[144:145]
	s_delay_alu instid0(VALU_DEP_4) | instskip(NEXT) | instid1(VALU_DEP_4)
	v_add_f64_e32 v[118:119], v[118:119], v[138:139]
	v_fma_f64 v[146:147], v[108:109], s[24:25], v[140:141]
	v_mul_f64_e32 v[100:101], s[24:25], v[108:109]
	v_mul_f64_e32 v[106:107], s[2:3], v[98:99]
	v_fma_f64 v[210:211], v[142:143], s[0:1], v[210:211]
	v_fma_f64 v[98:99], v[98:99], s[2:3], -v[144:145]
	v_fma_f64 v[138:139], v[138:139], s[20:21], v[118:119]
	v_fma_f64 v[100:101], v[96:97], s[4:5], -v[100:101]
	v_fma_f64 v[96:97], v[96:97], s[14:15], -v[140:141]
	;; [unrolled: 1-line block ×3, first 2 shown]
	v_fma_f64 v[98:99], v[142:143], s[0:1], v[98:99]
	v_add_f64_e32 v[146:147], v[146:147], v[138:139]
	v_add_f64_e32 v[100:101], v[100:101], v[138:139]
	;; [unrolled: 1-line block ×3, first 2 shown]
	v_fma_f64 v[106:107], v[142:143], s[0:1], v[106:107]
	s_delay_alu instid0(VALU_DEP_4) | instskip(NEXT) | instid1(VALU_DEP_2)
	v_add_f64_e64 v[212:213], v[146:147], -v[210:211]
	v_add_f64_e64 v[108:109], v[96:97], -v[106:107]
	v_add_f64_e32 v[96:97], v[106:107], v[96:97]
	ds_store_2addr_b64 v201, v[118:119], v[212:213] offset1:7
	v_add_f64_e32 v[118:119], v[98:99], v[100:101]
	v_add_f64_e64 v[98:99], v[100:101], -v[98:99]
	ds_store_2addr_b64 v201, v[108:109], v[118:119] offset0:14 offset1:21
	ds_store_2addr_b64 v201, v[98:99], v[96:97] offset0:28 offset1:35
	v_add_f64_e32 v[96:97], v[210:211], v[146:147]
	s_wait_loadcnt 0x0
	v_add_f64_e32 v[98:99], v[204:205], v[8:9]
	v_add_f64_e32 v[108:109], v[246:247], v[122:123]
	ds_store_b64 v201, v[96:97] offset:336
	s_clause 0x1
	scratch_load_b64 v[100:101], off, off offset:84 th:TH_LOAD_LU
	scratch_load_b64 v[106:107], off, off offset:100 th:TH_LOAD_LU
	v_add_f64_e32 v[96:97], v[114:115], v[120:121]
	s_delay_alu instid0(VALU_DEP_1) | instskip(SKIP_1) | instid1(VALU_DEP_2)
	v_add_f64_e32 v[120:121], v[98:99], v[96:97]
	v_add_f64_e64 v[122:123], v[96:97], -v[108:109]
	v_add_f64_e32 v[120:121], v[108:109], v[120:121]
	v_add_f64_e64 v[108:109], v[108:109], -v[98:99]
	s_delay_alu instid0(VALU_DEP_3) | instskip(NEXT) | instid1(VALU_DEP_3)
	v_mul_f64_e32 v[122:123], s[18:19], v[122:123]
	v_add_f64_e32 v[84:85], v[84:85], v[120:121]
	s_delay_alu instid0(VALU_DEP_2) | instskip(NEXT) | instid1(VALU_DEP_2)
	v_fma_f64 v[140:141], v[108:109], s[24:25], v[122:123]
	v_fma_f64 v[120:121], v[120:121], s[20:21], v[84:85]
	s_delay_alu instid0(VALU_DEP_1)
	v_add_f64_e32 v[140:141], v[140:141], v[120:121]
	s_wait_loadcnt 0x0
	v_add_f64_e64 v[100:101], v[106:107], -v[100:101]
	s_clause 0x3
	scratch_load_b64 v[106:107], off, off offset:68 th:TH_LOAD_LU
	scratch_load_b64 v[8:9], off, off offset:108 th:TH_LOAD_LU
	;; [unrolled: 1-line block ×4, first 2 shown]
	s_wait_loadcnt 0x2
	v_add_f64_e64 v[106:107], v[106:107], -v[8:9]
	s_wait_loadcnt 0x0
	v_add_f64_e64 v[118:119], v[114:115], -v[118:119]
	scratch_load_b64 v[8:9], off, off offset:280 th:TH_LOAD_LU ; 8-byte Folded Reload
	v_add_f64_e64 v[138:139], v[118:119], -v[106:107]
	v_add_f64_e32 v[136:137], v[118:119], v[106:107]
	v_add_f64_e64 v[118:119], v[100:101], -v[118:119]
	s_delay_alu instid0(VALU_DEP_3) | instskip(NEXT) | instid1(VALU_DEP_3)
	v_mul_f64_e32 v[138:139], s[22:23], v[138:139]
	v_add_f64_e32 v[136:137], v[136:137], v[100:101]
	s_delay_alu instid0(VALU_DEP_2) | instskip(NEXT) | instid1(VALU_DEP_1)
	v_fma_f64 v[142:143], v[118:119], s[10:11], v[138:139]
	v_fma_f64 v[142:143], v[136:137], s[0:1], v[142:143]
	s_delay_alu instid0(VALU_DEP_1) | instskip(SKIP_4) | instid1(VALU_DEP_2)
	v_add_f64_e64 v[144:145], v[140:141], -v[142:143]
	ds_store_2addr_b64 v124, v[84:85], v[144:145] offset1:7
	v_add_f64_e64 v[84:85], v[98:99], -v[96:97]
	v_add_f64_e64 v[96:97], v[106:107], -v[100:101]
	v_mul_f64_e32 v[98:99], s[24:25], v[108:109]
	v_fma_f64 v[100:101], v[96:97], s[2:3], -v[138:139]
	v_mul_f64_e32 v[96:97], s[2:3], v[96:97]
	s_delay_alu instid0(VALU_DEP_3) | instskip(SKIP_1) | instid1(VALU_DEP_4)
	v_fma_f64 v[98:99], v[84:85], s[4:5], -v[98:99]
	v_fma_f64 v[84:85], v[84:85], s[14:15], -v[122:123]
	v_fma_f64 v[100:101], v[136:137], s[0:1], v[100:101]
	s_delay_alu instid0(VALU_DEP_4) | instskip(NEXT) | instid1(VALU_DEP_4)
	v_fma_f64 v[96:97], v[118:119], s[12:13], -v[96:97]
	v_add_f64_e32 v[98:99], v[98:99], v[120:121]
	s_delay_alu instid0(VALU_DEP_4) | instskip(NEXT) | instid1(VALU_DEP_3)
	v_add_f64_e32 v[84:85], v[84:85], v[120:121]
	v_fma_f64 v[96:97], v[136:137], s[0:1], v[96:97]
	s_delay_alu instid0(VALU_DEP_3) | instskip(SKIP_1) | instid1(VALU_DEP_3)
	v_add_f64_e32 v[106:107], v[100:101], v[98:99]
	v_add_f64_e64 v[98:99], v[98:99], -v[100:101]
	v_add_f64_e64 v[108:109], v[84:85], -v[96:97]
	v_add_f64_e32 v[84:85], v[96:97], v[84:85]
	v_add_f64_e32 v[96:97], v[177:178], v[169:170]
	ds_store_2addr_b64 v124, v[108:109], v[106:107] offset0:14 offset1:21
	ds_store_2addr_b64 v124, v[98:99], v[84:85] offset0:28 offset1:35
	v_add_f64_e32 v[84:85], v[142:143], v[140:141]
	v_add_f64_e32 v[106:107], v[126:127], v[244:245]
	v_add_f64_e64 v[108:109], v[229:230], -v[251:252]
	v_dual_mov_b32 v229, v231 :: v_dual_add_nc_u32 v252, 0x2c00, v242
	ds_store_b64 v124, v[84:85] offset:336
	s_wait_loadcnt 0x0
	v_add_f64_e32 v[84:85], v[116:117], v[8:9]
	scratch_load_b64 v[8:9], off, off offset:232 th:TH_LOAD_LU ; 8-byte Folded Reload
	v_add_f64_e32 v[114:115], v[96:97], v[84:85]
	v_add_f64_e64 v[118:119], v[84:85], -v[106:107]
	v_add_f64_e64 v[84:85], v[96:97], -v[84:85]
	s_delay_alu instid0(VALU_DEP_3) | instskip(SKIP_1) | instid1(VALU_DEP_4)
	v_add_f64_e32 v[114:115], v[106:107], v[114:115]
	v_add_f64_e64 v[106:107], v[106:107], -v[96:97]
	v_mul_f64_e32 v[118:119], s[18:19], v[118:119]
	s_delay_alu instid0(VALU_DEP_3) | instskip(NEXT) | instid1(VALU_DEP_3)
	v_add_f64_e32 v[86:87], v[86:87], v[114:115]
	v_mul_f64_e32 v[96:97], s[24:25], v[106:107]
	s_delay_alu instid0(VALU_DEP_3) | instskip(NEXT) | instid1(VALU_DEP_3)
	v_fma_f64 v[126:127], v[106:107], s[24:25], v[118:119]
	v_fma_f64 v[114:115], v[114:115], s[20:21], v[86:87]
	s_delay_alu instid0(VALU_DEP_3) | instskip(SKIP_1) | instid1(VALU_DEP_3)
	v_fma_f64 v[96:97], v[84:85], s[4:5], -v[96:97]
	v_fma_f64 v[84:85], v[84:85], s[14:15], -v[118:119]
	v_add_f64_e32 v[126:127], v[126:127], v[114:115]
	s_delay_alu instid0(VALU_DEP_3) | instskip(NEXT) | instid1(VALU_DEP_3)
	v_add_f64_e32 v[96:97], v[96:97], v[114:115]
	v_add_f64_e32 v[84:85], v[84:85], v[114:115]
	s_wait_loadcnt 0x0
	v_add_f64_e64 v[98:99], v[216:217], -v[8:9]
	scratch_load_b64 v[8:9], off, off offset:116 th:TH_LOAD_LU ; 8-byte Folded Reload
	s_wait_loadcnt 0x0
	v_add_f64_e64 v[100:101], v[202:203], -v[8:9]
	scratch_load_b64 v[8:9], off, off offset:240 th:TH_LOAD_LU ; 8-byte Folded Reload
	v_add_f64_e64 v[122:123], v[108:109], -v[100:101]
	v_add_f64_e32 v[120:121], v[108:109], v[100:101]
	v_add_f64_e64 v[108:109], v[98:99], -v[108:109]
	s_delay_alu instid0(VALU_DEP_3) | instskip(NEXT) | instid1(VALU_DEP_3)
	v_mul_f64_e32 v[122:123], s[22:23], v[122:123]
	v_add_f64_e32 v[120:121], v[120:121], v[98:99]
	s_delay_alu instid0(VALU_DEP_2) | instskip(NEXT) | instid1(VALU_DEP_1)
	v_fma_f64 v[136:137], v[108:109], s[10:11], v[122:123]
	v_fma_f64 v[136:137], v[120:121], s[0:1], v[136:137]
	s_delay_alu instid0(VALU_DEP_1) | instskip(SKIP_2) | instid1(VALU_DEP_1)
	v_add_f64_e64 v[138:139], v[126:127], -v[136:137]
	ds_store_2addr_b64 v125, v[86:87], v[138:139] offset1:7
	v_add_f64_e64 v[86:87], v[100:101], -v[98:99]
	v_fma_f64 v[98:99], v[86:87], s[2:3], -v[122:123]
	v_mul_f64_e32 v[86:87], s[2:3], v[86:87]
	s_delay_alu instid0(VALU_DEP_2) | instskip(NEXT) | instid1(VALU_DEP_2)
	v_fma_f64 v[98:99], v[120:121], s[0:1], v[98:99]
	v_fma_f64 v[86:87], v[108:109], s[12:13], -v[86:87]
	s_delay_alu instid0(VALU_DEP_2) | instskip(NEXT) | instid1(VALU_DEP_2)
	v_add_f64_e32 v[100:101], v[98:99], v[96:97]
	v_fma_f64 v[86:87], v[120:121], s[0:1], v[86:87]
	v_add_f64_e64 v[96:97], v[96:97], -v[98:99]
	s_wait_loadcnt 0x0
	v_add_f64_e64 v[98:99], v[206:207], -v[8:9]
	scratch_load_b64 v[8:9], off, off offset:288 th:TH_LOAD_LU ; 8-byte Folded Reload
	v_add_f64_e64 v[106:107], v[84:85], -v[86:87]
	v_add_f64_e32 v[84:85], v[86:87], v[84:85]
	v_add_f64_e32 v[86:87], v[104:105], v[92:93]
	v_add_f64_e64 v[104:105], v[185:186], -v[183:184]
	v_add_f64_e64 v[92:93], v[161:162], -v[167:168]
	ds_store_2addr_b64 v125, v[106:107], v[100:101] offset0:14 offset1:21
	ds_store_2addr_b64 v125, v[96:97], v[84:85] offset0:28 offset1:35
	v_add_f64_e32 v[84:85], v[136:137], v[126:127]
	v_add_f64_e64 v[96:97], v[175:176], -v[181:182]
	v_add_f64_e32 v[100:101], v[148:149], v[154:155]
	v_add_f64_e64 v[118:119], v[104:105], -v[98:99]
	v_add_f64_e32 v[116:117], v[104:105], v[98:99]
	ds_store_b64 v125, v[84:85] offset:336
	v_add_f64_e32 v[84:85], v[179:180], v[171:172]
	v_add_f64_e64 v[104:105], v[96:97], -v[104:105]
	v_mul_f64_e32 v[118:119], s[22:23], v[118:119]
	v_add_f64_e32 v[116:117], v[116:117], v[96:97]
	s_delay_alu instid0(VALU_DEP_4) | instskip(SKIP_3) | instid1(VALU_DEP_4)
	v_add_f64_e32 v[106:107], v[86:87], v[84:85]
	v_add_f64_e64 v[108:109], v[84:85], -v[100:101]
	v_add_f64_e64 v[84:85], v[86:87], -v[84:85]
	v_fma_f64 v[122:123], v[104:105], s[10:11], v[118:119]
	v_add_f64_e32 v[106:107], v[100:101], v[106:107]
	v_add_f64_e64 v[100:101], v[100:101], -v[86:87]
	v_add_f64_e64 v[86:87], v[98:99], -v[96:97]
	v_mul_f64_e32 v[108:109], s[18:19], v[108:109]
	v_fma_f64 v[122:123], v[116:117], s[0:1], v[122:123]
	v_add_f64_e32 v[114:115], v[254:255], v[106:107]
	v_mul_f64_e32 v[96:97], s[24:25], v[100:101]
	v_fma_f64 v[98:99], v[86:87], s[2:3], -v[118:119]
	v_mul_f64_e32 v[86:87], s[2:3], v[86:87]
	v_fma_f64 v[120:121], v[100:101], s[24:25], v[108:109]
	v_fma_f64 v[106:107], v[106:107], s[20:21], v[114:115]
	v_fma_f64 v[96:97], v[84:85], s[4:5], -v[96:97]
	v_fma_f64 v[84:85], v[84:85], s[14:15], -v[108:109]
	;; [unrolled: 1-line block ×3, first 2 shown]
	v_fma_f64 v[98:99], v[116:117], s[0:1], v[98:99]
	v_add_f64_e32 v[120:121], v[120:121], v[106:107]
	v_add_f64_e32 v[96:97], v[96:97], v[106:107]
	;; [unrolled: 1-line block ×3, first 2 shown]
	v_fma_f64 v[86:87], v[116:117], s[0:1], v[86:87]
	s_delay_alu instid0(VALU_DEP_4) | instskip(NEXT) | instid1(VALU_DEP_4)
	v_add_f64_e64 v[124:125], v[120:121], -v[122:123]
	v_add_f64_e32 v[100:101], v[98:99], v[96:97]
	v_add_f64_e64 v[96:97], v[96:97], -v[98:99]
	s_delay_alu instid0(VALU_DEP_4)
	v_add_f64_e64 v[104:105], v[84:85], -v[86:87]
	v_add_f64_e32 v[84:85], v[86:87], v[84:85]
	v_add_f64_e32 v[86:87], v[90:91], v[112:113]
	v_add_f64_e64 v[90:91], v[165:166], -v[173:174]
	ds_store_2addr_b64 v132, v[114:115], v[124:125] offset1:7
	ds_store_2addr_b64 v132, v[104:105], v[100:101] offset0:14 offset1:21
	ds_store_2addr_b64 v132, v[96:97], v[84:85] offset0:28 offset1:35
	v_add_f64_e32 v[84:85], v[122:123], v[120:121]
	v_add_f64_e64 v[108:109], v[90:91], -v[92:93]
	v_add_f64_e32 v[106:107], v[90:91], v[92:93]
	ds_store_b64 v132, v[84:85] offset:336
	s_wait_loadcnt 0x0
	v_add_f64_e32 v[84:85], v[88:89], v[8:9]
	scratch_load_b64 v[8:9], off, off offset:256 th:TH_LOAD_LU ; 8-byte Folded Reload
	v_add_f64_e32 v[88:89], v[150:151], v[134:135]
	v_mul_f64_e32 v[108:109], s[22:23], v[108:109]
	v_add_f64_e32 v[98:99], v[86:87], v[84:85]
	s_delay_alu instid0(VALU_DEP_3) | instskip(SKIP_1) | instid1(VALU_DEP_3)
	v_add_f64_e64 v[100:101], v[84:85], -v[88:89]
	v_add_f64_e64 v[84:85], v[86:87], -v[84:85]
	v_add_f64_e32 v[98:99], v[88:89], v[98:99]
	v_add_f64_e64 v[88:89], v[88:89], -v[86:87]
	s_delay_alu instid0(VALU_DEP_4) | instskip(NEXT) | instid1(VALU_DEP_1)
	v_mul_f64_e32 v[100:101], s[18:19], v[100:101]
	v_fma_f64 v[114:115], v[88:89], s[24:25], v[100:101]
	v_mul_f64_e32 v[88:89], s[24:25], v[88:89]
	s_delay_alu instid0(VALU_DEP_1)
	v_fma_f64 v[88:89], v[84:85], s[4:5], -v[88:89]
	v_fma_f64 v[84:85], v[84:85], s[14:15], -v[100:101]
	s_wait_loadcnt 0x0
	v_add_f64_e64 v[96:97], v[163:164], -v[8:9]
	scratch_load_b64 v[8:9], off, off offset:224 th:TH_LOAD_LU ; 8-byte Folded Reload
	v_add_f64_e64 v[86:87], v[92:93], -v[96:97]
	v_add_f64_e64 v[90:91], v[96:97], -v[90:91]
	v_add_f64_e32 v[106:107], v[106:107], v[96:97]
	s_delay_alu instid0(VALU_DEP_3) | instskip(SKIP_1) | instid1(VALU_DEP_4)
	v_fma_f64 v[92:93], v[86:87], s[2:3], -v[108:109]
	v_mul_f64_e32 v[86:87], s[2:3], v[86:87]
	v_fma_f64 v[116:117], v[90:91], s[10:11], v[108:109]
	s_delay_alu instid0(VALU_DEP_2) | instskip(NEXT) | instid1(VALU_DEP_4)
	v_fma_f64 v[86:87], v[90:91], s[12:13], -v[86:87]
	v_fma_f64 v[90:91], v[106:107], s[0:1], v[92:93]
	s_delay_alu instid0(VALU_DEP_3) | instskip(NEXT) | instid1(VALU_DEP_3)
	v_fma_f64 v[116:117], v[106:107], s[0:1], v[116:117]
	v_fma_f64 v[86:87], v[106:107], s[0:1], v[86:87]
	s_wait_loadcnt 0x0
	v_add_f64_e32 v[104:105], v[8:9], v[98:99]
	scratch_load_b64 v[8:9], off, off offset:304 th:TH_LOAD_LU ; 8-byte Folded Reload
	v_fma_f64 v[98:99], v[98:99], s[20:21], v[104:105]
	s_delay_alu instid0(VALU_DEP_1) | instskip(SKIP_2) | instid1(VALU_DEP_3)
	v_add_f64_e32 v[88:89], v[88:89], v[98:99]
	v_add_f64_e32 v[84:85], v[84:85], v[98:99]
	;; [unrolled: 1-line block ×4, first 2 shown]
	s_delay_alu instid0(VALU_DEP_3)
	v_add_f64_e64 v[96:97], v[84:85], -v[86:87]
	v_add_f64_e64 v[88:89], v[88:89], -v[90:91]
	v_add_f64_e32 v[84:85], v[86:87], v[84:85]
	v_add_f64_e64 v[118:119], v[114:115], -v[116:117]
	ds_store_2addr_b64 v133, v[96:97], v[92:93] offset0:14 offset1:21
	v_add_f64_e64 v[96:97], v[156:157], -v[218:219]
	ds_store_2addr_b64 v133, v[88:89], v[84:85] offset0:28 offset1:35
	v_add_f64_e32 v[84:85], v[116:117], v[114:115]
	v_add_f64_e32 v[92:93], v[102:103], v[94:95]
	ds_store_2addr_b64 v133, v[104:105], v[118:119] offset1:7
	ds_store_b64 v133, v[84:85] offset:336
	s_wait_loadcnt 0x0
	v_add_f64_e32 v[84:85], v[190:191], v[8:9]
	scratch_load_b64 v[8:9], off, off offset:296 th:TH_LOAD_LU ; 8-byte Folded Reload
	v_add_f64_e64 v[100:101], v[84:85], -v[92:93]
	s_delay_alu instid0(VALU_DEP_1)
	v_mul_f64_e32 v[100:101], s[18:19], v[100:101]
	s_wait_loadcnt 0x0
	v_add_f64_e32 v[86:87], v[194:195], v[8:9]
	scratch_load_b64 v[8:9], off, off offset:272 th:TH_LOAD_LU ; 8-byte Folded Reload
	v_add_f64_e32 v[98:99], v[86:87], v[84:85]
	v_add_f64_e64 v[84:85], v[86:87], -v[84:85]
	s_delay_alu instid0(VALU_DEP_2) | instskip(SKIP_1) | instid1(VALU_DEP_1)
	v_add_f64_e32 v[98:99], v[92:93], v[98:99]
	v_add_f64_e64 v[92:93], v[92:93], -v[86:87]
	v_fma_f64 v[108:109], v[92:93], s[24:25], v[100:101]
	s_wait_loadcnt 0x0
	v_add_f64_e64 v[88:89], v[159:160], -v[8:9]
	scratch_load_b64 v[8:9], off, off offset:264 th:TH_LOAD_LU ; 8-byte Folded Reload
	s_wait_loadcnt 0x0
	v_add_f64_e64 v[90:91], v[192:193], -v[8:9]
	scratch_load_b64 v[8:9], off, off offset:216 th:TH_LOAD_LU ; 8-byte Folded Reload
	v_add_f64_e64 v[106:107], v[96:97], -v[90:91]
	v_add_f64_e32 v[104:105], v[96:97], v[90:91]
	v_add_f64_e64 v[86:87], v[90:91], -v[88:89]
	v_add_f64_e64 v[96:97], v[88:89], -v[96:97]
	s_delay_alu instid0(VALU_DEP_4) | instskip(NEXT) | instid1(VALU_DEP_4)
	v_mul_f64_e32 v[106:107], s[22:23], v[106:107]
	v_add_f64_e32 v[104:105], v[104:105], v[88:89]
	v_mul_f64_e32 v[88:89], s[24:25], v[92:93]
	s_delay_alu instid0(VALU_DEP_3) | instskip(SKIP_1) | instid1(VALU_DEP_3)
	v_fma_f64 v[90:91], v[86:87], s[2:3], -v[106:107]
	v_mul_f64_e32 v[86:87], s[2:3], v[86:87]
	v_fma_f64 v[88:89], v[84:85], s[4:5], -v[88:89]
	v_fma_f64 v[84:85], v[84:85], s[14:15], -v[100:101]
	v_fma_f64 v[112:113], v[96:97], s[10:11], v[106:107]
	v_fma_f64 v[90:91], v[104:105], s[0:1], v[90:91]
	v_fma_f64 v[86:87], v[96:97], s[12:13], -v[86:87]
	s_delay_alu instid0(VALU_DEP_3) | instskip(NEXT) | instid1(VALU_DEP_2)
	v_fma_f64 v[112:113], v[104:105], s[0:1], v[112:113]
	v_fma_f64 v[86:87], v[104:105], s[0:1], v[86:87]
	s_wait_loadcnt 0x0
	v_add_f64_e32 v[102:103], v[8:9], v[98:99]
	s_delay_alu instid0(VALU_DEP_1) | instskip(NEXT) | instid1(VALU_DEP_1)
	v_fma_f64 v[98:99], v[98:99], s[20:21], v[102:103]
	v_add_f64_e32 v[88:89], v[88:89], v[98:99]
	v_add_f64_e32 v[84:85], v[84:85], v[98:99]
	;; [unrolled: 1-line block ×3, first 2 shown]
	s_delay_alu instid0(VALU_DEP_3) | instskip(NEXT) | instid1(VALU_DEP_3)
	v_add_f64_e32 v[92:93], v[90:91], v[88:89]
	v_add_f64_e64 v[96:97], v[84:85], -v[86:87]
	v_add_f64_e64 v[88:89], v[88:89], -v[90:91]
	v_add_f64_e32 v[84:85], v[86:87], v[84:85]
	v_add_f64_e64 v[114:115], v[108:109], -v[112:113]
	ds_store_2addr_b64 v111, v[96:97], v[92:93] offset0:14 offset1:21
	ds_store_2addr_b64 v111, v[88:89], v[84:85] offset0:28 offset1:35
	v_add_f64_e32 v[84:85], v[112:113], v[108:109]
	ds_store_2addr_b64 v111, v[102:103], v[114:115] offset1:7
	ds_store_b64 v111, v[84:85] offset:336
	v_mul_u32_u24_e32 v84, 6, v200
	global_wb scope:SCOPE_SE
	s_wait_dscnt 0x0
	s_barrier_signal -1
	s_barrier_wait -1
	global_inv scope:SCOPE_SE
	v_lshlrev_b32_e32 v96, 4, v84
	ds_load_2addr_b64 v[88:91], v231 offset0:87 offset1:136
	scratch_load_b32 v8, off, off offset:132 ; 4-byte Folded Reload
	s_clause 0x1
	global_load_b128 v[84:87], v96, s[8:9] offset:672
	global_load_b128 v[132:135], v96, s[8:9] offset:688
	scratch_store_b32 off, v96, off offset:532 ; 4-byte Folded Spill
	s_clause 0x1
	global_load_b128 v[182:185], v96, s[8:9] offset:720
	global_load_b128 v[214:217], v96, s[8:9] offset:752
	s_wait_loadcnt_dscnt 0x300
	v_mul_f64_e32 v[92:93], v[88:89], v[86:87]
	s_delay_alu instid0(VALU_DEP_1) | instskip(SKIP_2) | instid1(VALU_DEP_2)
	v_fma_f64 v[140:141], v[80:81], v[84:85], v[92:93]
	v_mul_f64_e32 v[92:93], v[90:91], v[86:87]
	v_mul_f64_e32 v[80:81], v[80:81], v[86:87]
	v_fma_f64 v[218:219], v[82:83], v[84:85], v[92:93]
	v_mul_f64_e32 v[82:83], v[82:83], v[86:87]
	s_delay_alu instid0(VALU_DEP_3) | instskip(NEXT) | instid1(VALU_DEP_2)
	v_fma_f64 v[176:177], v[88:89], v[84:85], -v[80:81]
	v_fma_f64 v[94:95], v[90:91], v[84:85], -v[82:83]
	global_load_b128 v[84:87], v96, s[8:9] offset:704
	ds_load_2addr_b64 v[88:91], v228 offset0:5 offset1:54
	s_wait_loadcnt_dscnt 0x0
	v_mul_f64_e32 v[82:83], v[88:89], v[86:87]
	s_delay_alu instid0(VALU_DEP_1)
	v_fma_f64 v[232:233], v[76:77], v[84:85], v[82:83]
	v_mul_f64_e32 v[82:83], v[90:91], v[86:87]
	v_mul_f64_e32 v[76:77], v[76:77], v[86:87]
	scratch_store_b64 off, v[140:141], off offset:100 ; 8-byte Folded Spill
	v_fma_f64 v[210:211], v[78:79], v[84:85], v[82:83]
	v_mul_f64_e32 v[78:79], v[78:79], v[86:87]
	v_fma_f64 v[244:245], v[88:89], v[84:85], -v[76:77]
	s_clause 0x1
	scratch_store_b64 off, v[232:233], off offset:108
	scratch_store_b64 off, v[176:177], off offset:232
	v_fma_f64 v[205:206], v[90:91], v[84:85], -v[78:79]
	scratch_store_b64 off, v[244:245], off offset:216 ; 8-byte Folded Spill
	global_load_b128 v[84:87], v96, s[8:9] offset:736
	ds_load_2addr_b64 v[88:91], v243 offset0:179 offset1:228
	s_wait_loadcnt_dscnt 0x0
	v_mul_f64_e32 v[78:79], v[88:89], v[86:87]
	s_delay_alu instid0(VALU_DEP_1) | instskip(SKIP_2) | instid1(VALU_DEP_2)
	v_fma_f64 v[224:225], v[72:73], v[84:85], v[78:79]
	v_mul_f64_e32 v[78:79], v[90:91], v[86:87]
	v_mul_f64_e32 v[72:73], v[72:73], v[86:87]
	v_fma_f64 v[122:123], v[74:75], v[84:85], v[78:79]
	v_mul_f64_e32 v[74:75], v[74:75], v[86:87]
	s_delay_alu instid0(VALU_DEP_3) | instskip(NEXT) | instid1(VALU_DEP_2)
	v_fma_f64 v[238:239], v[88:89], v[84:85], -v[72:73]
	v_fma_f64 v[92:93], v[90:91], v[84:85], -v[74:75]
	v_and_b32_e32 v74, 0xff, v189
	ds_load_2addr_b64 v[88:91], v231 offset0:185 offset1:234
	v_mul_lo_u16 v74, 0x4f, v74
	s_delay_alu instid0(VALU_DEP_1) | instskip(NEXT) | instid1(VALU_DEP_1)
	v_lshrrev_b16 v74, 8, v74
	v_sub_nc_u16 v75, v189, v74
	s_delay_alu instid0(VALU_DEP_1) | instskip(NEXT) | instid1(VALU_DEP_1)
	v_lshrrev_b16 v75, 1, v75
	v_and_b32_e32 v75, 0x7f, v75
	s_delay_alu instid0(VALU_DEP_1) | instskip(NEXT) | instid1(VALU_DEP_1)
	v_add_nc_u16 v74, v75, v74
	v_lshrrev_b16 v74, 5, v74
	s_delay_alu instid0(VALU_DEP_1) | instskip(NEXT) | instid1(VALU_DEP_1)
	v_mul_lo_u16 v74, v74, 49
	v_sub_nc_u16 v74, v189, v74
	s_delay_alu instid0(VALU_DEP_1) | instskip(NEXT) | instid1(VALU_DEP_1)
	v_and_b32_e32 v119, 0xff, v74
	v_mul_u32_u24_e32 v75, 6, v119
	s_delay_alu instid0(VALU_DEP_1)
	v_lshlrev_b32_e32 v75, 4, v75
	s_clause 0x1
	global_load_b128 v[84:87], v75, s[8:9] offset:672
	global_load_b128 v[186:189], v75, s[8:9] offset:688
	s_wait_loadcnt_dscnt 0x100
	v_mul_f64_e32 v[96:97], v[88:89], v[86:87]
	s_delay_alu instid0(VALU_DEP_1) | instskip(SKIP_1) | instid1(VALU_DEP_1)
	v_fma_f64 v[154:155], v[68:69], v[84:85], v[96:97]
	v_mul_f64_e32 v[68:69], v[68:69], v[86:87]
	v_fma_f64 v[100:101], v[88:89], v[84:85], -v[68:69]
	v_and_b32_e32 v68, 0xff, v8
	s_delay_alu instid0(VALU_DEP_1) | instskip(NEXT) | instid1(VALU_DEP_1)
	v_mul_lo_u16 v68, 0x4f, v68
	v_lshrrev_b16 v68, 8, v68
	s_delay_alu instid0(VALU_DEP_1) | instskip(NEXT) | instid1(VALU_DEP_1)
	v_sub_nc_u16 v69, v8, v68
	v_lshrrev_b16 v69, 1, v69
	s_delay_alu instid0(VALU_DEP_1) | instskip(NEXT) | instid1(VALU_DEP_1)
	v_and_b32_e32 v69, 0x7f, v69
	v_add_nc_u16 v68, v69, v68
	s_delay_alu instid0(VALU_DEP_1) | instskip(NEXT) | instid1(VALU_DEP_1)
	v_lshrrev_b16 v68, 5, v68
	v_mul_lo_u16 v68, v68, 49
	s_delay_alu instid0(VALU_DEP_1) | instskip(NEXT) | instid1(VALU_DEP_1)
	v_sub_nc_u16 v68, v8, v68
	v_and_b32_e32 v80, 0xff, v68
	s_delay_alu instid0(VALU_DEP_1) | instskip(NEXT) | instid1(VALU_DEP_1)
	v_mul_u32_u24_e32 v69, 6, v80
	v_lshlrev_b32_e32 v96, 4, v69
	s_clause 0x2
	global_load_b128 v[84:87], v96, s[8:9] offset:672
	global_load_b128 v[102:105], v96, s[8:9] offset:688
	;; [unrolled: 1-line block ×3, first 2 shown]
	s_wait_loadcnt 0x2
	v_mul_f64_e32 v[88:89], v[90:91], v[86:87]
	s_delay_alu instid0(VALU_DEP_1)
	v_fma_f64 v[8:9], v[70:71], v[84:85], v[88:89]
	v_mul_f64_e32 v[69:70], v[70:71], v[86:87]
	v_add_nc_u32_e32 v71, 0x3800, v242
	scratch_store_b64 off, v[8:9], off offset:224 ; 8-byte Folded Spill
	v_fma_f64 v[8:9], v[90:91], v[84:85], -v[69:70]
	global_load_b128 v[84:87], v75, s[8:9] offset:704
	ds_load_2addr_b64 v[88:91], v228 offset0:103 offset1:152
	scratch_store_b64 off, v[8:9], off offset:116 ; 8-byte Folded Spill
	s_wait_loadcnt_dscnt 0x0
	v_mul_f64_e32 v[69:70], v[88:89], v[86:87]
	s_delay_alu instid0(VALU_DEP_1) | instskip(SKIP_1) | instid1(VALU_DEP_1)
	v_fma_f64 v[98:99], v[64:65], v[84:85], v[69:70]
	v_mul_f64_e32 v[64:65], v[64:65], v[86:87]
	v_fma_f64 v[81:82], v[88:89], v[84:85], -v[64:65]
	s_clause 0x1
	global_load_b128 v[84:87], v96, s[8:9] offset:704
	global_load_b128 v[114:117], v96, s[8:9] offset:720
	s_wait_loadcnt 0x1
	v_mul_f64_e32 v[64:65], v[90:91], v[86:87]
	s_delay_alu instid0(VALU_DEP_1)
	v_fma_f64 v[8:9], v[66:67], v[84:85], v[64:65]
	v_mul_f64_e32 v[64:65], v[66:67], v[86:87]
	scratch_store_b64 off, v[8:9], off offset:272 ; 8-byte Folded Spill
	v_fma_f64 v[8:9], v[90:91], v[84:85], -v[64:65]
	scratch_store_b64 off, v[8:9], off offset:248 ; 8-byte Folded Spill
	s_clause 0x1
	global_load_b128 v[64:67], v75, s[8:9] offset:736
	global_load_b128 v[84:87], v75, s[8:9] offset:752
	ds_load_2addr_b64 v[88:91], v71 offset0:21 offset1:70
	v_add_nc_u32_e32 v8, 0x1800, v242
	s_wait_loadcnt_dscnt 0x100
	v_mul_f64_e32 v[69:70], v[88:89], v[66:67]
	s_delay_alu instid0(VALU_DEP_1) | instskip(SKIP_1) | instid1(VALU_DEP_1)
	v_fma_f64 v[190:191], v[60:61], v[64:65], v[69:70]
	v_mul_f64_e32 v[60:61], v[60:61], v[66:67]
	v_fma_f64 v[192:193], v[88:89], v[64:65], -v[60:61]
	s_clause 0x1
	global_load_b128 v[64:67], v96, s[8:9] offset:736
	global_load_b128 v[124:127], v96, s[8:9] offset:752
	v_dual_mov_b32 v96, v154 :: v_dual_mov_b32 v97, v155
	s_wait_loadcnt 0x1
	v_mul_f64_e32 v[60:61], v[90:91], v[66:67]
	s_delay_alu instid0(VALU_DEP_1) | instskip(SKIP_2) | instid1(VALU_DEP_2)
	v_fma_f64 v[136:137], v[62:63], v[64:65], v[60:61]
	v_mul_f64_e32 v[60:61], v[62:63], v[66:67]
	v_add_nc_u32_e32 v83, 0x4400, v242
	v_fma_f64 v[148:149], v[90:91], v[64:65], -v[60:61]
	ds_load_2addr_b64 v[60:63], v8 offset0:65 offset1:114
	s_wait_dscnt 0x0
	v_mul_f64_e32 v[64:65], v[60:61], v[104:105]
	s_delay_alu instid0(VALU_DEP_1) | instskip(SKIP_2) | instid1(VALU_DEP_2)
	v_fma_f64 v[138:139], v[56:57], v[102:103], v[64:65]
	v_mul_f64_e32 v[56:57], v[56:57], v[104:105]
	v_add_nc_u32_e32 v104, 0x1400, v242
	v_fma_f64 v[171:172], v[60:61], v[102:103], -v[56:57]
	scratch_load_b32 v60, off, off offset:136 ; 4-byte Folded Reload
	s_wait_loadcnt 0x0
	v_and_b32_e32 v56, 0xff, v60
	s_delay_alu instid0(VALU_DEP_1) | instskip(NEXT) | instid1(VALU_DEP_1)
	v_mul_lo_u16 v56, 0x4f, v56
	v_lshrrev_b16 v56, 8, v56
	s_delay_alu instid0(VALU_DEP_1) | instskip(NEXT) | instid1(VALU_DEP_1)
	v_sub_nc_u16 v57, v60, v56
	v_lshrrev_b16 v57, 1, v57
	s_delay_alu instid0(VALU_DEP_1) | instskip(NEXT) | instid1(VALU_DEP_1)
	v_and_b32_e32 v57, 0x7f, v57
	v_add_nc_u16 v56, v57, v56
	s_delay_alu instid0(VALU_DEP_1) | instskip(NEXT) | instid1(VALU_DEP_1)
	v_lshrrev_b16 v56, 5, v56
	v_mul_lo_u16 v56, v56, 49
	s_delay_alu instid0(VALU_DEP_1) | instskip(NEXT) | instid1(VALU_DEP_1)
	v_sub_nc_u16 v56, v60, v56
	v_and_b32_e32 v56, 0xff, v56
	s_delay_alu instid0(VALU_DEP_1) | instskip(NEXT) | instid1(VALU_DEP_1)
	v_mul_u32_u24_e32 v57, 6, v56
	v_lshlrev_b32_e32 v69, 4, v57
	s_clause 0x1
	global_load_b128 v[64:67], v69, s[8:9] offset:688
	global_load_b128 v[88:91], v69, s[8:9] offset:672
	s_wait_loadcnt 0x1
	v_mul_f64_e32 v[60:61], v[62:63], v[66:67]
	s_delay_alu instid0(VALU_DEP_1)
	v_fma_f64 v[9:10], v[58:59], v[64:65], v[60:61]
	v_mul_f64_e32 v[57:58], v[58:59], v[66:67]
	scratch_store_b64 off, v[9:10], off offset:240 ; 8-byte Folded Spill
	v_fma_f64 v[9:10], v[62:63], v[64:65], -v[57:58]
	ds_load_2addr_b64 v[57:60], v252 offset0:111 offset1:160
	s_wait_dscnt 0x0
	v_mul_f64_e32 v[61:62], v[57:58], v[116:117]
	scratch_store_b64 off, v[9:10], off offset:208 ; 8-byte Folded Spill
	v_fma_f64 v[194:195], v[52:53], v[114:115], v[61:62]
	s_clause 0x1
	global_load_b128 v[61:64], v69, s[8:9] offset:720
	global_load_b128 v[160:163], v69, s[8:9] offset:704
	v_mul_f64_e32 v[52:53], v[52:53], v[116:117]
	s_delay_alu instid0(VALU_DEP_1) | instskip(SKIP_2) | instid1(VALU_DEP_1)
	v_fma_f64 v[165:166], v[57:58], v[114:115], -v[52:53]
	s_wait_loadcnt 0x1
	v_mul_f64_e32 v[52:53], v[59:60], v[63:64]
	v_fma_f64 v[9:10], v[54:55], v[61:62], v[52:53]
	v_mul_f64_e32 v[52:53], v[54:55], v[63:64]
	scratch_store_b64 off, v[9:10], off offset:280 ; 8-byte Folded Spill
	v_fma_f64 v[9:10], v[59:60], v[61:62], -v[52:53]
	scratch_store_b64 off, v[9:10], off offset:264 ; 8-byte Folded Spill
	v_add_nc_u32_e32 v9, 0x4000, v242
	ds_load_2addr_b64 v[52:55], v9 offset0:157 offset1:206
	s_wait_dscnt 0x0
	v_mul_f64_e32 v[57:58], v[52:53], v[126:127]
	s_delay_alu instid0(VALU_DEP_1)
	v_fma_f64 v[111:112], v[48:49], v[124:125], v[57:58]
	s_clause 0x1
	global_load_b128 v[57:60], v69, s[8:9] offset:752
	global_load_b128 v[61:64], v69, s[8:9] offset:736
	v_mul_f64_e32 v[48:49], v[48:49], v[126:127]
	scratch_store_b32 off, v110, off offset:296 ; 4-byte Folded Spill
	v_fma_f64 v[234:235], v[52:53], v[124:125], -v[48:49]
	s_wait_loadcnt 0x1
	v_mul_f64_e32 v[48:49], v[54:55], v[59:60]
	s_delay_alu instid0(VALU_DEP_1) | instskip(SKIP_1) | instid1(VALU_DEP_1)
	v_fma_f64 v[113:114], v[50:51], v[57:58], v[48:49]
	v_mul_f64_e32 v[48:49], v[50:51], v[59:60]
	v_fma_f64 v[236:237], v[54:55], v[57:58], -v[48:49]
	ds_load_2addr_b64 v[48:51], v158 offset0:27 offset1:76
	v_add_nc_u32_e32 v118, 0xc00, v242
	s_wait_dscnt 0x0
	v_mul_f64_e32 v[52:53], v[48:49], v[90:91]
	s_delay_alu instid0(VALU_DEP_1) | instskip(SKIP_1) | instid1(VALU_DEP_1)
	v_fma_f64 v[169:170], v[44:45], v[88:89], v[52:53]
	v_mul_f64_e32 v[44:45], v[44:45], v[90:91]
	v_fma_f64 v[152:153], v[48:49], v[88:89], -v[44:45]
	scratch_load_b32 v44, off, off offset:144 th:TH_LOAD_LU ; 4-byte Folded Reload
	s_wait_loadcnt 0x0
	v_mul_u32_u24_e32 v44, 0x4e5f, v44
	s_delay_alu instid0(VALU_DEP_1) | instskip(NEXT) | instid1(VALU_DEP_1)
	v_lshrrev_b32_e32 v44, 16, v44
	v_sub_nc_u16 v45, v110, v44
	s_delay_alu instid0(VALU_DEP_1) | instskip(NEXT) | instid1(VALU_DEP_1)
	v_lshrrev_b16 v45, 1, v45
	v_add_nc_u16 v44, v45, v44
	s_delay_alu instid0(VALU_DEP_1) | instskip(NEXT) | instid1(VALU_DEP_1)
	v_lshrrev_b16 v44, 5, v44
	v_mul_lo_u16 v44, v44, 49
	s_delay_alu instid0(VALU_DEP_1) | instskip(NEXT) | instid1(VALU_DEP_1)
	v_sub_nc_u16 v44, v110, v44
	v_and_b32_e32 v44, 0xffff, v44
	s_delay_alu instid0(VALU_DEP_1) | instskip(NEXT) | instid1(VALU_DEP_1)
	v_mul_u32_u24_e32 v45, 6, v44
	v_lshlrev_b32_e32 v65, 4, v45
	s_clause 0x1
	global_load_b128 v[52:55], v65, s[8:9] offset:672
	global_load_b128 v[57:60], v65, s[8:9] offset:688
	s_wait_loadcnt 0x1
	v_mul_f64_e32 v[48:49], v[50:51], v[54:55]
	s_delay_alu instid0(VALU_DEP_1) | instskip(SKIP_1) | instid1(VALU_DEP_1)
	v_fma_f64 v[178:179], v[46:47], v[52:53], v[48:49]
	v_mul_f64_e32 v[45:46], v[46:47], v[54:55]
	v_fma_f64 v[10:11], v[50:51], v[52:53], -v[45:46]
	ds_load_2addr_b64 v[45:48], v228 offset0:201 offset1:250
	s_wait_dscnt 0x0
	v_mul_f64_e32 v[49:50], v[45:46], v[162:163]
	scratch_store_b64 off, v[10:11], off offset:144 ; 8-byte Folded Spill
	v_fma_f64 v[68:69], v[40:41], v[160:161], v[49:50]
	s_clause 0x1
	global_load_b128 v[49:52], v65, s[8:9] offset:704
	global_load_b128 v[88:91], v65, s[8:9] offset:720
	v_mul_f64_e32 v[40:41], v[40:41], v[162:163]
	s_delay_alu instid0(VALU_DEP_1) | instskip(SKIP_3) | instid1(VALU_DEP_1)
	v_fma_f64 v[126:127], v[45:46], v[160:161], -v[40:41]
	v_add_nc_u32_e32 v212, 0x3c00, v242
	s_wait_loadcnt 0x1
	v_mul_f64_e32 v[40:41], v[47:48], v[51:52]
	v_fma_f64 v[163:164], v[42:43], v[49:50], v[40:41]
	v_mul_f64_e32 v[40:41], v[42:43], v[51:52]
	s_delay_alu instid0(VALU_DEP_1)
	v_fma_f64 v[10:11], v[47:48], v[49:50], -v[40:41]
	ds_load_2addr_b64 v[40:43], v71 offset0:119 offset1:168
	s_wait_dscnt 0x0
	v_mul_f64_e32 v[45:46], v[40:41], v[63:64]
	scratch_store_b64 off, v[10:11], off offset:256 ; 8-byte Folded Spill
	v_mul_f64_e32 v[10:11], v[2:3], v[86:87]
	v_fma_f64 v[53:54], v[36:37], v[61:62], v[45:46]
	s_clause 0x1
	global_load_b128 v[45:48], v65, s[8:9] offset:736
	global_load_b128 v[49:52], v65, s[8:9] offset:752
	v_mul_f64_e32 v[36:37], v[36:37], v[63:64]
	scratch_store_b32 off, v209, off offset:384 ; 4-byte Folded Spill
	v_fma_f64 v[180:181], v[40:41], v[61:62], -v[36:37]
	v_mov_b32_e32 v61, v158
	s_wait_loadcnt 0x1
	v_mul_f64_e32 v[36:37], v[42:43], v[47:48]
	s_delay_alu instid0(VALU_DEP_1) | instskip(SKIP_1) | instid1(VALU_DEP_1)
	v_fma_f64 v[174:175], v[38:39], v[45:46], v[36:37]
	v_mul_f64_e32 v[36:37], v[38:39], v[47:48]
	v_fma_f64 v[144:145], v[42:43], v[45:46], -v[36:37]
	ds_load_2addr_b64 v[36:39], v104 offset0:95 offset1:144
	v_lshl_add_u32 v42, v253, 3, 0
	s_wait_dscnt 0x0
	v_mul_f64_e32 v[40:41], v[38:39], v[188:189]
	s_delay_alu instid0(VALU_DEP_1) | instskip(SKIP_1) | instid1(VALU_DEP_1)
	v_fma_f64 v[73:74], v[34:35], v[186:187], v[40:41]
	v_mul_f64_e32 v[34:35], v[34:35], v[188:189]
	v_fma_f64 v[115:116], v[38:39], v[186:187], -v[34:35]
	v_mul_f64_e32 v[34:35], v[36:37], v[134:135]
	s_delay_alu instid0(VALU_DEP_1) | instskip(SKIP_1) | instid1(VALU_DEP_1)
	v_fma_f64 v[222:223], v[32:33], v[132:133], v[34:35]
	v_mul_f64_e32 v[32:33], v[32:33], v[134:135]
	v_fma_f64 v[120:121], v[36:37], v[132:133], -v[32:33]
	ds_load_2addr_b64 v[36:39], v158 offset0:125 offset1:174
	s_wait_dscnt 0x0
	v_mul_f64_e32 v[40:41], v[38:39], v[134:135]
	s_delay_alu instid0(VALU_DEP_1) | instskip(SKIP_1) | instid1(VALU_DEP_1)
	v_fma_f64 v[240:241], v[26:27], v[132:133], v[40:41]
	v_mul_f64_e32 v[26:27], v[26:27], v[134:135]
	v_fma_f64 v[226:227], v[38:39], v[132:133], -v[26:27]
	scratch_load_b32 v26, off, off offset:140 th:TH_LOAD_LU ; 4-byte Folded Reload
	s_wait_loadcnt 0x0
	v_mul_u32_u24_e32 v26, 0x4e5f, v26
	s_delay_alu instid0(VALU_DEP_1) | instskip(NEXT) | instid1(VALU_DEP_1)
	v_lshrrev_b32_e32 v26, 16, v26
	v_sub_nc_u16 v27, v209, v26
	s_delay_alu instid0(VALU_DEP_1) | instskip(NEXT) | instid1(VALU_DEP_1)
	v_lshrrev_b16 v27, 1, v27
	v_add_nc_u16 v26, v27, v26
	s_delay_alu instid0(VALU_DEP_1) | instskip(NEXT) | instid1(VALU_DEP_1)
	v_lshrrev_b16 v26, 5, v26
	v_mul_lo_u16 v26, v26, 49
	s_delay_alu instid0(VALU_DEP_1) | instskip(NEXT) | instid1(VALU_DEP_1)
	v_sub_nc_u16 v26, v209, v26
	v_and_b32_e32 v132, 0xffff, v26
	s_delay_alu instid0(VALU_DEP_1) | instskip(NEXT) | instid1(VALU_DEP_1)
	v_mul_u32_u24_e32 v26, 6, v132
	v_lshlrev_b32_e32 v43, 4, v26
	s_clause 0x1
	global_load_b128 v[38:41], v43, s[8:9] offset:672
	global_load_b128 v[45:48], v43, s[8:9] offset:688
	s_wait_loadcnt 0x1
	v_mul_f64_e32 v[26:27], v[36:37], v[40:41]
	s_delay_alu instid0(VALU_DEP_1) | instskip(SKIP_1) | instid1(VALU_DEP_1)
	v_fma_f64 v[146:147], v[24:25], v[38:39], v[26:27]
	v_mul_f64_e32 v[24:25], v[24:25], v[40:41]
	v_fma_f64 v[220:221], v[36:37], v[38:39], -v[24:25]
	ds_load_2addr_b64 v[24:27], v8 offset0:163 offset1:212
	v_add_nc_u32_e32 v8, 0x2800, v242
	s_wait_dscnt 0x0
	v_mul_f64_e32 v[36:37], v[24:25], v[59:60]
	s_delay_alu instid0(VALU_DEP_1) | instskip(SKIP_1) | instid1(VALU_DEP_1)
	v_fma_f64 v[32:33], v[28:29], v[57:58], v[36:37]
	v_mul_f64_e32 v[28:29], v[28:29], v[59:60]
	v_fma_f64 v[142:143], v[24:25], v[57:58], -v[28:29]
	s_wait_loadcnt 0x0
	v_mul_f64_e32 v[24:25], v[26:27], v[47:48]
	s_delay_alu instid0(VALU_DEP_1) | instskip(SKIP_1) | instid1(VALU_DEP_1)
	v_fma_f64 v[159:160], v[30:31], v[45:46], v[24:25]
	v_mul_f64_e32 v[24:25], v[30:31], v[47:48]
	v_fma_f64 v[161:162], v[26:27], v[45:46], -v[24:25]
	ds_load_2addr_b64 v[24:27], v8 offset0:141 offset1:190
	s_wait_dscnt 0x0
	v_mul_f64_e32 v[28:29], v[26:27], v[203:204]
	s_delay_alu instid0(VALU_DEP_1) | instskip(SKIP_1) | instid1(VALU_DEP_1)
	v_fma_f64 v[254:255], v[22:23], v[201:202], v[28:29]
	v_mul_f64_e32 v[22:23], v[22:23], v[203:204]
	v_fma_f64 v[186:187], v[26:27], v[201:202], -v[22:23]
	v_mul_f64_e32 v[22:23], v[24:25], v[184:185]
	s_delay_alu instid0(VALU_DEP_1) | instskip(SKIP_1) | instid1(VALU_DEP_1)
	v_fma_f64 v[207:208], v[20:21], v[182:183], v[22:23]
	v_mul_f64_e32 v[20:21], v[20:21], v[184:185]
	v_fma_f64 v[20:21], v[24:25], v[182:183], -v[20:21]
	ds_load_2addr_b64 v[24:27], v8 offset0:43 offset1:92
	s_wait_dscnt 0x0
	v_mul_f64_e32 v[28:29], v[26:27], v[184:185]
	s_delay_alu instid0(VALU_DEP_1) | instskip(SKIP_2) | instid1(VALU_DEP_2)
	v_fma_f64 v[108:109], v[14:15], v[182:183], v[28:29]
	v_mul_f64_e32 v[14:15], v[14:15], v[184:185]
	v_dual_mov_b32 v185, v116 :: v_dual_mov_b32 v184, v115
	v_fma_f64 v[106:107], v[26:27], v[182:183], -v[14:15]
	s_clause 0x1
	global_load_b128 v[26:29], v43, s[8:9] offset:704
	global_load_b128 v[36:39], v43, s[8:9] offset:720
	s_wait_loadcnt 0x1
	v_mul_f64_e32 v[14:15], v[24:25], v[28:29]
	s_delay_alu instid0(VALU_DEP_1) | instskip(SKIP_1) | instid1(VALU_DEP_1)
	v_fma_f64 v[77:78], v[12:13], v[26:27], v[14:15]
	v_mul_f64_e32 v[12:13], v[12:13], v[28:29]
	v_fma_f64 v[59:60], v[24:25], v[26:27], -v[12:13]
	ds_load_2addr_b64 v[12:15], v243 offset0:81 offset1:130
	s_wait_dscnt 0x0
	v_mul_f64_e32 v[24:25], v[12:13], v[90:91]
	s_delay_alu instid0(VALU_DEP_1) | instskip(SKIP_1) | instid1(VALU_DEP_1)
	v_fma_f64 v[202:203], v[16:17], v[88:89], v[24:25]
	v_mul_f64_e32 v[16:17], v[16:17], v[90:91]
	v_fma_f64 v[167:168], v[12:13], v[88:89], -v[16:17]
	s_wait_loadcnt 0x0
	v_mul_f64_e32 v[12:13], v[14:15], v[38:39]
	v_dual_mov_b32 v88, v190 :: v_dual_mov_b32 v89, v191
	v_dual_mov_b32 v191, v99 :: v_dual_mov_b32 v190, v98
	v_lshl_add_u32 v98, v119, 3, 0
	v_lshl_add_u32 v99, v80, 3, 0
	v_dual_mov_b32 v173, v71 :: v_dual_mov_b32 v80, v33
	v_mov_b32_e32 v79, v32
	s_delay_alu instid0(VALU_DEP_4)
	v_add_nc_u32_e32 v213, 0x1000, v98
	v_add_nc_u32_e32 v117, 0x1800, v98
	v_dual_mov_b32 v32, v59 :: v_dual_add_nc_u32 v133, 0x2000, v99
	v_mov_b32_e32 v33, v60
	v_fma_f64 v[22:23], v[18:19], v[36:37], v[12:13]
	v_mul_f64_e32 v[12:13], v[18:19], v[38:39]
	s_delay_alu instid0(VALU_DEP_2) | instskip(NEXT) | instid1(VALU_DEP_2)
	v_dual_mov_b32 v76, v23 :: v_dual_mov_b32 v75, v22
	v_fma_f64 v[90:91], v[14:15], v[36:37], -v[12:13]
	ds_load_2addr_b64 v[12:15], v9 offset0:59 offset1:108
	v_mul_f64_e32 v[8:9], v[0:1], v[216:217]
	s_wait_dscnt 0x0
	v_mul_f64_e32 v[16:17], v[14:15], v[86:87]
	v_fma_f64 v[102:103], v[14:15], v[84:85], -v[10:11]
	v_mul_f64_e32 v[10:11], v[12:13], v[216:217]
	v_dual_mov_b32 v22, v90 :: v_dual_mov_b32 v23, v91
	v_fma_f64 v[8:9], v[12:13], v[214:215], -v[8:9]
	ds_load_2addr_b64 v[12:15], v212 offset0:89 offset1:138
	v_fma_f64 v[230:231], v[2:3], v[84:85], v[16:17]
	v_mul_f64_e32 v[2:3], v[130:131], v[216:217]
	s_wait_dscnt 0x0
	v_mul_f64_e32 v[16:17], v[14:15], v[216:217]
	v_fma_f64 v[10:11], v[0:1], v[214:215], v[10:11]
	s_delay_alu instid0(VALU_DEP_3) | instskip(NEXT) | instid1(VALU_DEP_3)
	v_fma_f64 v[86:87], v[14:15], v[214:215], -v[2:3]
	v_fma_f64 v[84:85], v[130:131], v[214:215], v[16:17]
	s_clause 0x1
	global_load_b128 v[14:17], v43, s[8:9] offset:736
	global_load_b128 v[24:27], v43, s[8:9] offset:752
	s_clause 0x4
	scratch_load_b32 v251, off, off offset:124
	scratch_load_b32 v105, off, off offset:128
	scratch_load_b32 v72, off, off
	scratch_load_b32 v248, off, off offset:16
	scratch_load_b32 v156, off, off offset:32 th:TH_LOAD_LU
	ds_load_b64 v[246:247], v42
	v_add_f64_e64 v[90:91], v[218:219], -v[10:11]
	v_add_f64_e64 v[28:29], v[176:177], -v[86:87]
	v_dual_mov_b32 v177, v69 :: v_dual_mov_b32 v176, v68
	s_wait_loadcnt 0x6
	v_mul_f64_e32 v[2:3], v[12:13], v[16:17]
	v_mul_f64_e32 v[0:1], v[128:129], v[16:17]
	s_wait_loadcnt 0x3
	ds_load_b64 v[45:46], v105
	s_wait_dscnt 0x0
	scratch_store_b64 off, v[45:46], off offset:84 ; 8-byte Folded Spill
	s_wait_loadcnt 0x2
	ds_load_b64 v[45:46], v72
	v_fma_f64 v[182:183], v[128:129], v[14:15], v[2:3]
	v_fma_f64 v[216:217], v[12:13], v[14:15], -v[0:1]
	ds_load_2addr_b64 v[0:3], v83 offset0:127 offset1:176
	v_dual_mov_b32 v129, v101 :: v_dual_mov_b32 v128, v100
	v_lshl_add_u32 v201, v56, 3, 0
	v_dual_mov_b32 v68, v126 :: v_dual_mov_b32 v69, v127
	s_wait_dscnt 0x1
	scratch_store_b64 off, v[45:46], off offset:68 ; 8-byte Folded Spill
	s_wait_loadcnt 0x1
	ds_load_b64 v[45:46], v248
	v_add_nc_u32_e32 v135, 0x2800, v201
	v_add_nc_u32_e32 v126, 0x3000, v201
	s_wait_dscnt 0x1
	v_mul_f64_e32 v[12:13], v[0:1], v[51:52]
	s_wait_dscnt 0x0
	scratch_store_b64 off, v[45:46], off offset:52 ; 8-byte Folded Spill
	s_wait_loadcnt 0x0
	ds_load_b64 v[45:46], v156
	s_wait_dscnt 0x0
	scratch_store_b64 off, v[45:46], off offset:36 ; 8-byte Folded Spill
	v_fma_f64 v[188:189], v[4:5], v[49:50], v[12:13]
	v_mul_f64_e32 v[4:5], v[4:5], v[51:52]
	s_delay_alu instid0(VALU_DEP_1)
	v_fma_f64 v[249:250], v[0:1], v[49:50], -v[4:5]
	v_mul_f64_e32 v[0:1], v[2:3], v[26:27]
	v_add_f64_e32 v[4:5], v[140:141], v[84:85]
	v_dual_mov_b32 v141, v137 :: v_dual_mov_b32 v140, v136
	v_mov_b32_e32 v100, v163
	v_lshl_add_u32 v110, v44, 3, 0
	v_dual_mov_b32 v34, v144 :: v_dual_mov_b32 v35, v145
	v_dual_mov_b32 v144, v220 :: v_dual_mov_b32 v145, v221
	s_delay_alu instid0(VALU_DEP_3)
	v_add_nc_u32_e32 v119, 0x3000, v110
	v_mov_b32_e32 v101, v164
	v_add_nc_u32_e32 v127, 0x3800, v110
	v_mov_b32_e32 v163, v249
	v_fma_f64 v[157:158], v[6:7], v[24:25], v[0:1]
	v_mul_f64_e32 v[0:1], v[6:7], v[26:27]
	v_add_f64_e32 v[6:7], v[240:241], v[224:225]
	v_mov_b32_e32 v164, v250
	s_delay_alu instid0(VALU_DEP_3) | instskip(SKIP_1) | instid1(VALU_DEP_4)
	v_fma_f64 v[57:58], v[2:3], v[24:25], -v[0:1]
	v_add_f64_e32 v[0:1], v[232:233], v[108:109]
	v_add_f64_e32 v[2:3], v[6:7], v[4:5]
	v_add_f64_e64 v[24:25], v[226:227], -v[238:239]
	s_delay_alu instid0(VALU_DEP_3) | instskip(NEXT) | instid1(VALU_DEP_3)
	v_add_f64_e64 v[14:15], v[4:5], -v[0:1]
	v_add_f64_e32 v[2:3], v[0:1], v[2:3]
	v_add_f64_e64 v[12:13], v[0:1], -v[6:7]
	scratch_load_b64 v[0:1], off, off offset:200 th:TH_LOAD_LU ; 8-byte Folded Reload
	v_add_f64_e64 v[4:5], v[6:7], -v[4:5]
	v_add_f64_e64 v[6:7], v[24:25], -v[28:29]
	v_mul_f64_e32 v[16:17], s[18:19], v[14:15]
	s_wait_loadcnt 0x0
	v_add_f64_e32 v[18:19], v[0:1], v[2:3]
	v_add_f64_e64 v[0:1], v[106:107], -v[244:245]
	v_dual_mov_b32 v244, v74 :: v_dual_mov_b32 v243, v73
	s_delay_alu instid0(VALU_DEP_3) | instskip(NEXT) | instid1(VALU_DEP_3)
	v_fma_f64 v[36:37], v[2:3], s[20:21], v[18:19]
	v_add_f64_e64 v[30:31], v[0:1], -v[24:25]
	v_add_f64_e32 v[14:15], v[0:1], v[24:25]
	v_add_f64_e64 v[26:27], v[28:29], -v[0:1]
	v_fma_f64 v[0:1], v[12:13], s[24:25], v[16:17]
	v_mul_f64_e32 v[12:13], s[24:25], v[12:13]
	ds_load_b64 v[2:3], v251
	v_add_f64_e64 v[24:25], v[20:21], -v[205:206]
	v_mul_f64_e32 v[30:31], s[22:23], v[30:31]
	v_add_f64_e32 v[14:15], v[14:15], v[28:29]
	v_add_f64_e32 v[38:39], v[0:1], v[36:37]
	v_fma_f64 v[12:13], v[4:5], s[4:5], -v[12:13]
	v_fma_f64 v[4:5], v[4:5], s[14:15], -v[16:17]
	v_mul_f64_e32 v[16:17], s[2:3], v[6:7]
	v_fma_f64 v[0:1], v[26:27], s[10:11], v[30:31]
	v_fma_f64 v[6:7], v[6:7], s[2:3], -v[30:31]
	v_add_f64_e32 v[12:13], v[12:13], v[36:37]
	v_add_f64_e32 v[4:5], v[4:5], v[36:37]
	v_fma_f64 v[16:17], v[26:27], s[12:13], -v[16:17]
	v_add_f64_e64 v[26:27], v[94:95], -v[8:9]
	v_add_f64_e32 v[94:95], v[94:95], v[8:9]
	v_fma_f64 v[40:41], v[14:15], s[0:1], v[0:1]
	ds_load_b64 v[0:1], v242
	v_fma_f64 v[6:7], v[14:15], s[0:1], v[6:7]
	global_wb scope:SCOPE_SE
	s_wait_storecnt_dscnt 0x0
	s_barrier_signal -1
	s_barrier_wait -1
	v_fma_f64 v[16:17], v[14:15], s[0:1], v[16:17]
	global_inv scope:SCOPE_SE
	s_clause 0x9
	scratch_load_b64 v[136:137], off, off offset:248 th:TH_LOAD_LU
	scratch_load_b64 v[130:131], off, off offset:280 th:TH_LOAD_LU
	;; [unrolled: 1-line block ×10, first 2 shown]
	v_add_f64_e32 v[45:46], v[40:41], v[38:39]
	v_add_f64_e32 v[14:15], v[16:17], v[4:5]
	v_add_f64_e64 v[4:5], v[4:5], -v[16:17]
	ds_store_2addr_b64 v242, v[18:19], v[45:46] offset1:49
	v_add_f64_e64 v[18:19], v[12:13], -v[6:7]
	v_add_f64_e32 v[6:7], v[6:7], v[12:13]
	v_add_f64_e32 v[12:13], v[222:223], v[122:123]
	ds_store_2addr_b64 v242, v[14:15], v[18:19] offset0:98 offset1:147
	ds_store_2addr_b64 v242, v[6:7], v[4:5] offset0:196 offset1:245
	v_add_f64_e32 v[6:7], v[218:219], v[10:11]
	v_add_f64_e32 v[14:15], v[210:211], v[207:208]
	v_add_f64_e64 v[4:5], v[38:39], -v[40:41]
	s_delay_alu instid0(VALU_DEP_3) | instskip(SKIP_1) | instid1(VALU_DEP_4)
	v_add_f64_e32 v[16:17], v[12:13], v[6:7]
	v_add_f64_e64 v[18:19], v[12:13], -v[6:7]
	v_add_f64_e64 v[6:7], v[6:7], -v[14:15]
	;; [unrolled: 1-line block ×3, first 2 shown]
	s_delay_alu instid0(VALU_DEP_4) | instskip(SKIP_1) | instid1(VALU_DEP_4)
	v_add_f64_e32 v[14:15], v[14:15], v[16:17]
	v_add_f64_e64 v[16:17], v[120:121], -v[92:93]
	v_mul_f64_e32 v[6:7], s[18:19], v[6:7]
	s_delay_alu instid0(VALU_DEP_2) | instskip(SKIP_3) | instid1(VALU_DEP_4)
	v_add_f64_e32 v[28:29], v[24:25], v[16:17]
	v_add_f64_e64 v[30:31], v[24:25], -v[16:17]
	v_add_f64_e64 v[24:25], v[26:27], -v[24:25]
	;; [unrolled: 1-line block ×3, first 2 shown]
	v_add_f64_e32 v[26:27], v[28:29], v[26:27]
	scratch_load_b64 v[28:29], off, off offset:192 th:TH_LOAD_LU ; 8-byte Folded Reload
	s_wait_loadcnt 0x0
	v_add_f64_e32 v[28:29], v[28:29], v[14:15]
	ds_store_2addr_b64 v229, v[4:5], v[28:29] offset0:38 offset1:87
	v_fma_f64 v[4:5], v[14:15], s[20:21], v[28:29]
	v_fma_f64 v[28:29], v[12:13], s[24:25], v[6:7]
	v_mul_f64_e32 v[12:13], s[24:25], v[12:13]
	v_fma_f64 v[6:7], v[18:19], s[14:15], -v[6:7]
	v_mul_f64_e32 v[14:15], s[22:23], v[30:31]
	v_mul_f64_e32 v[30:31], s[2:3], v[16:17]
	v_add_f64_e32 v[28:29], v[28:29], v[4:5]
	v_fma_f64 v[12:13], v[18:19], s[4:5], -v[12:13]
	scratch_load_b64 v[18:19], off, off offset:184 th:TH_LOAD_LU ; 8-byte Folded Reload
	v_add_f64_e32 v[6:7], v[6:7], v[4:5]
	v_fma_f64 v[30:31], v[24:25], s[12:13], -v[30:31]
	v_fma_f64 v[24:25], v[24:25], s[10:11], v[14:15]
	v_fma_f64 v[14:15], v[16:17], s[2:3], -v[14:15]
	v_add_f64_e32 v[4:5], v[12:13], v[4:5]
	s_delay_alu instid0(VALU_DEP_4) | instskip(NEXT) | instid1(VALU_DEP_4)
	v_fma_f64 v[30:31], v[26:27], s[0:1], v[30:31]
	v_fma_f64 v[24:25], v[26:27], s[0:1], v[24:25]
	s_delay_alu instid0(VALU_DEP_4) | instskip(SKIP_1) | instid1(VALU_DEP_4)
	v_fma_f64 v[12:13], v[26:27], s[0:1], v[14:15]
	v_add_f64_e64 v[26:27], v[186:187], -v[81:82]
	v_add_f64_e32 v[38:39], v[30:31], v[6:7]
	s_delay_alu instid0(VALU_DEP_4) | instskip(NEXT) | instid1(VALU_DEP_4)
	v_add_f64_e32 v[36:37], v[24:25], v[28:29]
	v_add_f64_e64 v[14:15], v[4:5], -v[12:13]
	v_add_f64_e32 v[4:5], v[12:13], v[4:5]
	v_add_f64_e32 v[12:13], v[190:191], v[254:255]
	ds_store_2addr_b64 v229, v[36:37], v[38:39] offset0:136 offset1:185
	ds_store_2addr_b64 v118, v[14:15], v[4:5] offset0:106 offset1:155
	v_add_f64_e64 v[4:5], v[6:7], -v[30:31]
	v_add_f64_e64 v[6:7], v[28:29], -v[24:25]
	;; [unrolled: 1-line block ×4, first 2 shown]
	v_dual_mov_b32 v116, v112 :: v_dual_mov_b32 v115, v111
	v_dual_mov_b32 v112, v54 :: v_dual_mov_b32 v111, v53
	v_lshl_add_u32 v132, v132, 3, 0
	s_delay_alu instid0(VALU_DEP_1)
	v_add_nc_u32_e32 v134, 0x4000, v132
	ds_store_2addr_b64 v61, v[4:5], v[6:7] offset0:76 offset1:125
	v_add_f64_e32 v[4:5], v[96:97], v[230:231]
	v_add_f64_e32 v[6:7], v[73:74], v[88:89]
	v_add_f64_e64 v[36:37], v[26:27], -v[24:25]
	v_add_f64_e32 v[30:31], v[26:27], v[24:25]
	v_add_f64_e64 v[26:27], v[28:29], -v[26:27]
	v_dual_mov_b32 v73, v148 :: v_dual_mov_b32 v74, v149
	v_dual_mov_b32 v148, v236 :: v_dual_mov_b32 v149, v237
	;; [unrolled: 1-line block ×4, first 2 shown]
	v_add_f64_e64 v[16:17], v[4:5], -v[12:13]
	v_add_f64_e32 v[14:15], v[6:7], v[4:5]
	v_mul_f64_e32 v[36:37], s[22:23], v[36:37]
	v_add_f64_e64 v[4:5], v[6:7], -v[4:5]
	v_add_f64_e32 v[30:31], v[30:31], v[28:29]
	v_mul_f64_e32 v[16:17], s[18:19], v[16:17]
	v_add_f64_e32 v[14:15], v[12:13], v[14:15]
	v_add_f64_e64 v[12:13], v[12:13], -v[6:7]
	v_add_f64_e64 v[6:7], v[24:25], -v[28:29]
	v_fma_f64 v[40:41], v[26:27], s[10:11], v[36:37]
	v_add_f64_e64 v[24:25], v[171:172], -v[73:74]
	v_add_f64_e64 v[28:29], v[232:233], -v[234:235]
	v_fma_f64 v[38:39], v[12:13], s[24:25], v[16:17]
	v_mul_f64_e32 v[12:13], s[24:25], v[12:13]
	v_fma_f64 v[40:41], v[30:31], s[0:1], v[40:41]
	s_delay_alu instid0(VALU_DEP_2)
	v_fma_f64 v[12:13], v[4:5], s[4:5], -v[12:13]
	v_fma_f64 v[4:5], v[4:5], s[14:15], -v[16:17]
	v_mul_f64_e32 v[16:17], s[2:3], v[6:7]
	v_fma_f64 v[6:7], v[6:7], s[2:3], -v[36:37]
	s_wait_loadcnt 0x0
	v_add_f64_e32 v[18:19], v[18:19], v[14:15]
	s_delay_alu instid0(VALU_DEP_3) | instskip(NEXT) | instid1(VALU_DEP_3)
	v_fma_f64 v[16:17], v[26:27], s[12:13], -v[16:17]
	v_fma_f64 v[6:7], v[30:31], s[0:1], v[6:7]
	v_add_f64_e64 v[26:27], v[165:166], -v[136:137]
	s_delay_alu instid0(VALU_DEP_4) | instskip(NEXT) | instid1(VALU_DEP_2)
	v_fma_f64 v[14:15], v[14:15], s[20:21], v[18:19]
	v_add_f64_e64 v[36:37], v[26:27], -v[24:25]
	s_delay_alu instid0(VALU_DEP_2)
	v_add_f64_e32 v[38:39], v[38:39], v[14:15]
	v_add_f64_e32 v[12:13], v[12:13], v[14:15]
	;; [unrolled: 1-line block ×3, first 2 shown]
	v_fma_f64 v[14:15], v[30:31], s[0:1], v[16:17]
	v_add_f64_e32 v[30:31], v[26:27], v[24:25]
	v_add_f64_e64 v[26:27], v[28:29], -v[26:27]
	v_mul_f64_e32 v[36:37], s[22:23], v[36:37]
	v_add_f64_e32 v[45:46], v[40:41], v[38:39]
	v_add_f64_e64 v[8:9], v[38:39], -v[40:41]
	v_add_f64_e32 v[16:17], v[14:15], v[4:5]
	v_add_f64_e64 v[4:5], v[4:5], -v[14:15]
	v_add_f64_e32 v[30:31], v[30:31], v[28:29]
	v_fma_f64 v[47:48], v[26:27], s[10:11], v[36:37]
	ds_store_2addr_b64 v213, v[18:19], v[45:46] offset0:174 offset1:223
	v_add_f64_e64 v[18:19], v[12:13], -v[6:7]
	v_add_f64_e32 v[6:7], v[6:7], v[12:13]
	v_add_f64_e32 v[12:13], v[154:155], v[194:195]
	v_fma_f64 v[47:48], v[30:31], s[0:1], v[47:48]
	ds_store_2addr_b64 v117, v[16:17], v[18:19] offset0:16 offset1:65
	scratch_load_b64 v[18:19], off, off offset:176 th:TH_LOAD_LU ; 8-byte Folded Reload
	ds_store_2addr_b64 v117, v[6:7], v[4:5] offset0:114 offset1:163
	v_add_f64_e32 v[4:5], v[150:151], v[115:116]
	v_add_f64_e32 v[6:7], v[138:139], v[140:141]
	s_delay_alu instid0(VALU_DEP_2) | instskip(NEXT) | instid1(VALU_DEP_2)
	v_add_f64_e64 v[16:17], v[4:5], -v[12:13]
	v_add_f64_e32 v[14:15], v[6:7], v[4:5]
	v_add_f64_e64 v[4:5], v[6:7], -v[4:5]
	s_delay_alu instid0(VALU_DEP_3) | instskip(NEXT) | instid1(VALU_DEP_3)
	v_mul_f64_e32 v[16:17], s[18:19], v[16:17]
	v_add_f64_e32 v[14:15], v[12:13], v[14:15]
	v_add_f64_e64 v[12:13], v[12:13], -v[6:7]
	v_add_f64_e64 v[6:7], v[24:25], -v[28:29]
	v_add_f64_e64 v[24:25], v[66:67], -v[180:181]
	v_add_f64_e64 v[28:29], v[152:153], -v[148:149]
	s_delay_alu instid0(VALU_DEP_4) | instskip(SKIP_1) | instid1(VALU_DEP_1)
	v_fma_f64 v[45:46], v[12:13], s[24:25], v[16:17]
	v_mul_f64_e32 v[12:13], s[24:25], v[12:13]
	v_fma_f64 v[12:13], v[4:5], s[4:5], -v[12:13]
	v_fma_f64 v[4:5], v[4:5], s[14:15], -v[16:17]
	v_mul_f64_e32 v[16:17], s[2:3], v[6:7]
	v_fma_f64 v[6:7], v[6:7], s[2:3], -v[36:37]
	s_delay_alu instid0(VALU_DEP_2) | instskip(NEXT) | instid1(VALU_DEP_2)
	v_fma_f64 v[16:17], v[26:27], s[12:13], -v[16:17]
	v_fma_f64 v[6:7], v[30:31], s[0:1], v[6:7]
	v_add_f64_e64 v[26:27], v[70:71], -v[68:69]
	s_delay_alu instid0(VALU_DEP_1) | instskip(NEXT) | instid1(VALU_DEP_1)
	v_add_f64_e64 v[36:37], v[26:27], -v[24:25]
	v_mul_f64_e32 v[36:37], s[22:23], v[36:37]
	s_wait_loadcnt 0x0
	v_add_f64_e32 v[18:19], v[18:19], v[14:15]
	s_delay_alu instid0(VALU_DEP_1) | instskip(NEXT) | instid1(VALU_DEP_1)
	v_fma_f64 v[14:15], v[14:15], s[20:21], v[18:19]
	v_add_f64_e32 v[45:46], v[45:46], v[14:15]
	v_add_f64_e32 v[12:13], v[12:13], v[14:15]
	;; [unrolled: 1-line block ×3, first 2 shown]
	v_fma_f64 v[14:15], v[30:31], s[0:1], v[16:17]
	v_add_f64_e32 v[30:31], v[26:27], v[24:25]
	v_add_f64_e64 v[26:27], v[28:29], -v[26:27]
	v_add_f64_e32 v[49:50], v[47:48], v[45:46]
	v_add_f64_e64 v[10:11], v[45:46], -v[47:48]
	;; [unrolled: 2-line block ×3, first 2 shown]
	v_add_f64_e32 v[30:31], v[30:31], v[28:29]
	v_fma_f64 v[51:52], v[26:27], s[10:11], v[36:37]
	ds_store_2addr_b64 v133, v[18:19], v[49:50] offset0:5 offset1:54
	v_add_f64_e64 v[18:19], v[12:13], -v[6:7]
	v_add_f64_e32 v[6:7], v[6:7], v[12:13]
	v_add_f64_e32 v[12:13], v[176:177], v[130:131]
	v_fma_f64 v[51:52], v[30:31], s[0:1], v[51:52]
	ds_store_2addr_b64 v133, v[16:17], v[18:19] offset0:103 offset1:152
	scratch_load_b64 v[18:19], off, off offset:168 th:TH_LOAD_LU ; 8-byte Folded Reload
	ds_store_2addr_b64 v133, v[6:7], v[4:5] offset0:201 offset1:250
	v_add_f64_e32 v[4:5], v[169:170], v[113:114]
	v_add_f64_e32 v[6:7], v[124:125], v[111:112]
	s_delay_alu instid0(VALU_DEP_2) | instskip(NEXT) | instid1(VALU_DEP_2)
	v_add_f64_e64 v[16:17], v[4:5], -v[12:13]
	v_add_f64_e32 v[14:15], v[6:7], v[4:5]
	v_add_f64_e64 v[4:5], v[6:7], -v[4:5]
	s_delay_alu instid0(VALU_DEP_3) | instskip(NEXT) | instid1(VALU_DEP_3)
	v_mul_f64_e32 v[16:17], s[18:19], v[16:17]
	v_add_f64_e32 v[14:15], v[12:13], v[14:15]
	v_add_f64_e64 v[12:13], v[12:13], -v[6:7]
	v_add_f64_e64 v[6:7], v[24:25], -v[28:29]
	;; [unrolled: 1-line block ×4, first 2 shown]
	v_dual_mov_b32 v250, v58 :: v_dual_mov_b32 v249, v57
	v_fma_f64 v[49:50], v[12:13], s[24:25], v[16:17]
	v_mul_f64_e32 v[12:13], s[24:25], v[12:13]
	s_delay_alu instid0(VALU_DEP_1) | instskip(SKIP_3) | instid1(VALU_DEP_2)
	v_fma_f64 v[12:13], v[4:5], s[4:5], -v[12:13]
	v_fma_f64 v[4:5], v[4:5], s[14:15], -v[16:17]
	v_mul_f64_e32 v[16:17], s[2:3], v[6:7]
	v_fma_f64 v[6:7], v[6:7], s[2:3], -v[36:37]
	v_fma_f64 v[16:17], v[26:27], s[12:13], -v[16:17]
	s_delay_alu instid0(VALU_DEP_2) | instskip(SKIP_1) | instid1(VALU_DEP_1)
	v_fma_f64 v[6:7], v[30:31], s[0:1], v[6:7]
	v_add_f64_e64 v[26:27], v[167:168], -v[64:65]
	v_add_f64_e64 v[36:37], v[26:27], -v[24:25]
	s_delay_alu instid0(VALU_DEP_1) | instskip(SKIP_2) | instid1(VALU_DEP_1)
	v_mul_f64_e32 v[36:37], s[22:23], v[36:37]
	s_wait_loadcnt 0x0
	v_add_f64_e32 v[18:19], v[18:19], v[14:15]
	v_fma_f64 v[14:15], v[14:15], s[20:21], v[18:19]
	s_delay_alu instid0(VALU_DEP_1)
	v_add_f64_e32 v[49:50], v[49:50], v[14:15]
	v_add_f64_e32 v[12:13], v[12:13], v[14:15]
	;; [unrolled: 1-line block ×3, first 2 shown]
	v_fma_f64 v[14:15], v[30:31], s[0:1], v[16:17]
	v_add_f64_e32 v[30:31], v[26:27], v[24:25]
	v_add_f64_e64 v[26:27], v[28:29], -v[26:27]
	v_add_f64_e32 v[53:54], v[51:52], v[49:50]
	s_delay_alu instid0(VALU_DEP_4)
	v_add_f64_e32 v[16:17], v[14:15], v[4:5]
	v_add_f64_e64 v[4:5], v[4:5], -v[14:15]
	v_add_f64_e32 v[30:31], v[30:31], v[28:29]
	v_fma_f64 v[55:56], v[26:27], s[10:11], v[36:37]
	ds_store_2addr_b64 v135, v[18:19], v[53:54] offset0:92 offset1:141
	v_add_f64_e64 v[18:19], v[12:13], -v[6:7]
	v_add_f64_e32 v[6:7], v[6:7], v[12:13]
	v_add_f64_e32 v[12:13], v[100:101], v[202:203]
	v_fma_f64 v[55:56], v[30:31], s[0:1], v[55:56]
	ds_store_2addr_b64 v135, v[16:17], v[18:19] offset0:190 offset1:239
	scratch_load_b64 v[18:19], off, off offset:160 th:TH_LOAD_LU ; 8-byte Folded Reload
	ds_store_2addr_b64 v126, v[6:7], v[4:5] offset0:32 offset1:81
	v_add_f64_e32 v[4:5], v[236:237], v[188:189]
	v_add_f64_e32 v[6:7], v[79:80], v[174:175]
	s_delay_alu instid0(VALU_DEP_2) | instskip(NEXT) | instid1(VALU_DEP_2)
	v_add_f64_e64 v[16:17], v[4:5], -v[12:13]
	v_add_f64_e32 v[14:15], v[6:7], v[4:5]
	v_add_f64_e64 v[4:5], v[6:7], -v[4:5]
	s_delay_alu instid0(VALU_DEP_3) | instskip(NEXT) | instid1(VALU_DEP_3)
	v_mul_f64_e32 v[16:17], s[18:19], v[16:17]
	v_add_f64_e32 v[14:15], v[12:13], v[14:15]
	v_add_f64_e64 v[12:13], v[12:13], -v[6:7]
	v_add_f64_e64 v[6:7], v[24:25], -v[28:29]
	v_add_f64_e64 v[24:25], v[161:162], -v[216:217]
	v_add_f64_e64 v[28:29], v[144:145], -v[249:250]
	s_delay_alu instid0(VALU_DEP_4) | instskip(SKIP_1) | instid1(VALU_DEP_1)
	v_fma_f64 v[53:54], v[12:13], s[24:25], v[16:17]
	v_mul_f64_e32 v[12:13], s[24:25], v[12:13]
	v_fma_f64 v[12:13], v[4:5], s[4:5], -v[12:13]
	v_fma_f64 v[4:5], v[4:5], s[14:15], -v[16:17]
	v_mul_f64_e32 v[16:17], s[2:3], v[6:7]
	v_fma_f64 v[6:7], v[6:7], s[2:3], -v[36:37]
	s_delay_alu instid0(VALU_DEP_2) | instskip(NEXT) | instid1(VALU_DEP_2)
	v_fma_f64 v[16:17], v[26:27], s[12:13], -v[16:17]
	v_fma_f64 v[6:7], v[30:31], s[0:1], v[6:7]
	v_add_f64_e64 v[26:27], v[22:23], -v[32:33]
	s_delay_alu instid0(VALU_DEP_1) | instskip(NEXT) | instid1(VALU_DEP_1)
	v_add_f64_e64 v[36:37], v[26:27], -v[24:25]
	v_mul_f64_e32 v[36:37], s[22:23], v[36:37]
	s_wait_loadcnt 0x0
	v_add_f64_e32 v[18:19], v[18:19], v[14:15]
	s_delay_alu instid0(VALU_DEP_1) | instskip(NEXT) | instid1(VALU_DEP_1)
	v_fma_f64 v[14:15], v[14:15], s[20:21], v[18:19]
	v_add_f64_e32 v[53:54], v[53:54], v[14:15]
	v_add_f64_e32 v[12:13], v[12:13], v[14:15]
	v_add_f64_e32 v[4:5], v[4:5], v[14:15]
	v_fma_f64 v[14:15], v[30:31], s[0:1], v[16:17]
	v_add_f64_e32 v[30:31], v[26:27], v[24:25]
	v_add_f64_e64 v[26:27], v[28:29], -v[26:27]
	v_add_f64_e32 v[43:44], v[55:56], v[53:54]
	s_delay_alu instid0(VALU_DEP_4)
	v_add_f64_e32 v[16:17], v[14:15], v[4:5]
	v_add_f64_e64 v[4:5], v[4:5], -v[14:15]
	v_add_f64_e32 v[30:31], v[30:31], v[28:29]
	v_fma_f64 v[57:58], v[26:27], s[10:11], v[36:37]
	ds_store_2addr_b64 v119, v[18:19], v[43:44] offset0:179 offset1:228
	v_add_f64_e64 v[18:19], v[12:13], -v[6:7]
	v_add_f64_e32 v[6:7], v[6:7], v[12:13]
	v_add_f64_e32 v[12:13], v[77:78], v[75:76]
	v_fma_f64 v[57:58], v[30:31], s[0:1], v[57:58]
	ds_store_2addr_b64 v127, v[16:17], v[18:19] offset0:21 offset1:70
	scratch_load_b64 v[18:19], off, off offset:152 th:TH_LOAD_LU ; 8-byte Folded Reload
	ds_store_2addr_b64 v127, v[6:7], v[4:5] offset0:119 offset1:168
	v_add_f64_e32 v[4:5], v[146:147], v[157:158]
	v_add_f64_e32 v[6:7], v[159:160], v[182:183]
	v_dual_mov_b32 v157, v216 :: v_dual_mov_b32 v158, v217
	s_delay_alu instid0(VALU_DEP_3) | instskip(NEXT) | instid1(VALU_DEP_3)
	v_add_f64_e64 v[16:17], v[4:5], -v[12:13]
	v_add_f64_e32 v[14:15], v[6:7], v[4:5]
	v_add_f64_e64 v[4:5], v[6:7], -v[4:5]
	s_delay_alu instid0(VALU_DEP_3) | instskip(NEXT) | instid1(VALU_DEP_3)
	v_mul_f64_e32 v[16:17], s[18:19], v[16:17]
	v_add_f64_e32 v[14:15], v[12:13], v[14:15]
	v_add_f64_e64 v[12:13], v[12:13], -v[6:7]
	v_add_f64_e64 v[6:7], v[24:25], -v[28:29]
	s_delay_alu instid0(VALU_DEP_2) | instskip(SKIP_1) | instid1(VALU_DEP_1)
	v_fma_f64 v[43:44], v[12:13], s[24:25], v[16:17]
	v_mul_f64_e32 v[12:13], s[24:25], v[12:13]
	v_fma_f64 v[12:13], v[4:5], s[4:5], -v[12:13]
	v_fma_f64 v[4:5], v[4:5], s[14:15], -v[16:17]
	v_mul_f64_e32 v[16:17], s[2:3], v[6:7]
	v_fma_f64 v[6:7], v[6:7], s[2:3], -v[36:37]
	v_mov_b32_e32 v36, v252
	s_delay_alu instid0(VALU_DEP_3) | instskip(NEXT) | instid1(VALU_DEP_3)
	v_fma_f64 v[16:17], v[26:27], s[12:13], -v[16:17]
	v_fma_f64 v[6:7], v[30:31], s[0:1], v[6:7]
	s_wait_loadcnt 0x0
	v_add_f64_e32 v[18:19], v[18:19], v[14:15]
	s_delay_alu instid0(VALU_DEP_1) | instskip(NEXT) | instid1(VALU_DEP_1)
	v_fma_f64 v[14:15], v[14:15], s[20:21], v[18:19]
	v_add_f64_e32 v[43:44], v[43:44], v[14:15]
	v_add_f64_e32 v[12:13], v[12:13], v[14:15]
	;; [unrolled: 1-line block ×3, first 2 shown]
	v_fma_f64 v[14:15], v[30:31], s[0:1], v[16:17]
	s_delay_alu instid0(VALU_DEP_4) | instskip(NEXT) | instid1(VALU_DEP_2)
	v_add_f64_e32 v[59:60], v[57:58], v[43:44]
	v_add_f64_e32 v[16:17], v[14:15], v[4:5]
	v_add_f64_e64 v[4:5], v[4:5], -v[14:15]
	v_add_f64_e64 v[14:15], v[53:54], -v[55:56]
	ds_store_2addr_b64 v134, v[18:19], v[59:60] offset0:10 offset1:59
	v_add_f64_e64 v[18:19], v[12:13], -v[6:7]
	v_add_f64_e32 v[6:7], v[6:7], v[12:13]
	v_add_f64_e64 v[12:13], v[49:50], -v[51:52]
	v_add_nc_u32_e32 v60, 0x3000, v242
	ds_store_2addr_b64 v134, v[16:17], v[18:19] offset0:108 offset1:157
	ds_store_2addr_b64 v134, v[6:7], v[4:5] offset0:206 offset1:255
	v_add_f64_e32 v[4:5], v[120:121], v[92:93]
	v_add_f64_e32 v[92:93], v[205:206], v[20:21]
	v_add_f64_e64 v[6:7], v[222:223], -v[122:123]
	v_add_f64_e64 v[204:205], v[207:208], -v[210:211]
	;; [unrolled: 1-line block ×3, first 2 shown]
	ds_store_b64 v98, v[8:9] offset:7840
	ds_store_b64 v99, v[10:11] offset:10584
	;; [unrolled: 1-line block ×5, first 2 shown]
	v_add_f64_e32 v[18:19], v[4:5], v[94:95]
	v_add_f64_e64 v[206:207], v[92:93], -v[4:5]
	v_add_f64_e64 v[208:209], v[4:5], -v[94:95]
	v_add_f64_e32 v[4:5], v[204:205], v[6:7]
	v_add_f64_e64 v[20:21], v[204:205], -v[6:7]
	v_add_f64_e64 v[214:215], v[6:7], -v[90:91]
	global_wb scope:SCOPE_SE
	s_wait_dscnt 0x0
	s_barrier_signal -1
	s_barrier_wait -1
	global_inv scope:SCOPE_SE
	v_add_nc_u32_e32 v8, 0x2800, v242
	v_add_nc_u32_e32 v10, 0x4000, v242
	v_add_f64_e32 v[120:121], v[226:227], v[238:239]
	v_add_f64_e64 v[122:123], v[240:241], -v[224:225]
	v_add_nc_u32_e32 v9, 0x1800, v242
	v_add_f64_e32 v[18:19], v[92:93], v[18:19]
	v_mul_f64_e32 v[6:7], s[24:25], v[206:207]
	v_add_f64_e32 v[218:219], v[4:5], v[90:91]
	v_mul_f64_e32 v[210:211], s[22:23], v[20:21]
	s_delay_alu instid0(VALU_DEP_4) | instskip(NEXT) | instid1(VALU_DEP_4)
	v_add_f64_e32 v[2:3], v[2:3], v[18:19]
	v_fma_f64 v[6:7], v[208:209], s[4:5], -v[6:7]
	s_delay_alu instid0(VALU_DEP_2) | instskip(NEXT) | instid1(VALU_DEP_1)
	v_fma_f64 v[216:217], v[18:19], s[20:21], v[2:3]
	v_add_f64_e32 v[4:5], v[6:7], v[216:217]
	v_fma_f64 v[6:7], v[214:215], s[2:3], -v[210:211]
	s_delay_alu instid0(VALU_DEP_1) | instskip(NEXT) | instid1(VALU_DEP_1)
	v_fma_f64 v[6:7], v[218:219], s[0:1], v[6:7]
	v_add_f64_e32 v[220:221], v[6:7], v[4:5]
	v_add_f64_e64 v[222:223], v[4:5], -v[6:7]
	ds_load_b64 v[4:5], v156
	s_wait_dscnt 0x0
	scratch_store_b64 off, v[4:5], off offset:360 ; 8-byte Folded Spill
	ds_load_b64 v[4:5], v72
	v_mov_b32_e32 v72, v83
	s_wait_dscnt 0x0
	scratch_store_b64 off, v[4:5], off offset:344 ; 8-byte Folded Spill
	ds_load_b64 v[4:5], v248
	s_wait_dscnt 0x0
	scratch_store_b64 off, v[4:5], off offset:352 ; 8-byte Folded Spill
	ds_load_b64 v[4:5], v242
	;; [unrolled: 3-line block ×3, first 2 shown]
	s_wait_dscnt 0x0
	s_clause 0x1
	scratch_store_b64 off, v[4:5], off offset:320
	scratch_store_b32 off, v42, off offset:32
	ds_load_b64 v[4:5], v42
	s_wait_dscnt 0x0
	scratch_store_b64 off, v[4:5], off offset:328 ; 8-byte Folded Spill
	ds_load_b64 v[4:5], v105
	s_wait_dscnt 0x0
	scratch_store_b64 off, v[4:5], off offset:336 ; 8-byte Folded Spill
	ds_load_2addr_b64 v[4:7], v229 offset0:87 offset1:136
	s_wait_dscnt 0x0
	scratch_store_b128 off, v[4:7], off offset:420 ; 16-byte Folded Spill
	ds_load_2addr_b64 v[37:40], v61 offset0:125 offset1:174
	ds_load_2addr_b64 v[4:7], v228 offset0:5 offset1:54
	ds_load_2addr_b64 v[12:15], v8 offset0:43 offset1:92
	s_wait_dscnt 0x1
	scratch_store_b128 off, v[4:7], off offset:436 ; 16-byte Folded Spill
	ds_load_2addr_b64 v[4:7], v60 offset0:179 offset1:228
	s_wait_dscnt 0x0
	s_clause 0x1
	scratch_store_b128 off, v[4:7], off offset:368
	scratch_store_b32 off, v212, off offset:288
	ds_load_2addr_b64 v[4:7], v104 offset0:95 offset1:144
	ds_load_2addr_b64 v[28:31], v212 offset0:89 offset1:138
	scratch_store_b32 off, v104, off offset:152 ; 4-byte Folded Spill
	s_wait_dscnt 0x1
	s_clause 0x1
	scratch_store_b128 off, v[4:7], off offset:388
	scratch_store_b32 off, v8, off offset:140
	ds_load_2addr_b64 v[4:7], v8 offset0:141 offset1:190
	s_clause 0x1
	scratch_store_b32 off, v36, off offset:184
	scratch_store_b32 off, v10, off offset:192
	ds_load_2addr_b64 v[16:19], v228 offset0:103 offset1:152
	v_mov_b32_e32 v8, v173
	s_wait_dscnt 0x1
	scratch_store_b128 off, v[4:7], off offset:404 ; 16-byte Folded Spill
	ds_load_2addr_b64 v[4:7], v10 offset0:59 offset1:108
	s_wait_dscnt 0x1
	scratch_store_b128 off, v[16:19], off offset:468 ; 16-byte Folded Spill
	ds_load_2addr_b64 v[16:19], v173 offset0:21 offset1:70
	;; [unrolled: 3-line block ×3, first 2 shown]
	s_wait_dscnt 0x1
	scratch_store_b128 off, v[16:19], off offset:484 ; 16-byte Folded Spill
	v_mov_b32_e32 v16, v60
	s_wait_dscnt 0x0
	scratch_store_b128 off, v[4:7], off offset:500 ; 16-byte Folded Spill
	ds_load_2addr_b64 v[4:7], v9 offset0:65 offset1:114
	s_wait_dscnt 0x0
	scratch_store_b128 off, v[4:7], off offset:516 ; 16-byte Folded Spill
	ds_load_2addr_b64 v[4:7], v252 offset0:111 offset1:160
	ds_load_2addr_b64 v[44:47], v10 offset0:157 offset1:206
	;; [unrolled: 1-line block ×3, first 2 shown]
	s_clause 0x3
	scratch_store_b32 off, v228, off offset:160
	scratch_store_b32 off, v8, off offset:168
	;; [unrolled: 1-line block ×4, first 2 shown]
	ds_load_2addr_b64 v[48:51], v228 offset0:201 offset1:250
	ds_load_2addr_b64 v[52:55], v173 offset0:119 offset1:168
	;; [unrolled: 1-line block ×5, first 2 shown]
	global_wb scope:SCOPE_SE
	s_wait_storecnt_dscnt 0x0
	s_barrier_signal -1
	s_barrier_wait -1
	global_inv scope:SCOPE_SE
	scratch_load_b64 v[42:43], off, off offset:232 th:TH_LOAD_LU ; 8-byte Folded Reload
	ds_store_2addr_b64 v118, v[220:221], v[222:223] offset0:106 offset1:155
	s_wait_loadcnt 0x0
	v_add_f64_e32 v[86:87], v[42:43], v[86:87]
	scratch_load_b64 v[42:43], off, off offset:100 th:TH_LOAD_LU ; 8-byte Folded Reload
	v_add_f64_e32 v[220:221], v[120:121], v[86:87]
	s_wait_loadcnt 0x0
	v_add_f64_e64 v[84:85], v[42:43], -v[84:85]
	scratch_load_b64 v[42:43], off, off offset:216 th:TH_LOAD_LU ; 8-byte Folded Reload
	s_wait_loadcnt 0x0
	v_add_f64_e32 v[106:107], v[42:43], v[106:107]
	scratch_load_b64 v[42:43], off, off offset:108 th:TH_LOAD_LU ; 8-byte Folded Reload
	v_add_f64_e32 v[220:221], v[106:107], v[220:221]
	v_add_f64_e64 v[222:223], v[86:87], -v[106:107]
	v_add_f64_e64 v[106:107], v[106:107], -v[120:121]
	s_delay_alu instid0(VALU_DEP_3) | instskip(NEXT) | instid1(VALU_DEP_3)
	v_add_f64_e32 v[0:1], v[0:1], v[220:221]
	v_mul_f64_e32 v[222:223], s[18:19], v[222:223]
	s_delay_alu instid0(VALU_DEP_2) | instskip(NEXT) | instid1(VALU_DEP_2)
	v_fma_f64 v[220:221], v[220:221], s[20:21], v[0:1]
	v_fma_f64 v[238:239], v[106:107], s[24:25], v[222:223]
	s_delay_alu instid0(VALU_DEP_1)
	v_add_f64_e32 v[238:239], v[238:239], v[220:221]
	s_wait_loadcnt 0x0
	v_add_f64_e64 v[108:109], v[108:109], -v[42:43]
	scratch_load_b64 v[41:42], off, off offset:84 th:TH_LOAD_LU ; 8-byte Folded Reload
	v_add_f64_e64 v[226:227], v[108:109], -v[122:123]
	v_add_f64_e32 v[224:225], v[108:109], v[122:123]
	v_add_f64_e64 v[108:109], v[84:85], -v[108:109]
	s_delay_alu instid0(VALU_DEP_3) | instskip(NEXT) | instid1(VALU_DEP_3)
	v_mul_f64_e32 v[226:227], s[22:23], v[226:227]
	v_add_f64_e32 v[224:225], v[224:225], v[84:85]
	v_add_f64_e64 v[84:85], v[122:123], -v[84:85]
	s_delay_alu instid0(VALU_DEP_3) | instskip(NEXT) | instid1(VALU_DEP_1)
	v_fma_f64 v[240:241], v[108:109], s[10:11], v[226:227]
	v_fma_f64 v[240:241], v[224:225], s[0:1], v[240:241]
	s_delay_alu instid0(VALU_DEP_1)
	v_add_f64_e64 v[251:252], v[238:239], -v[240:241]
	ds_store_2addr_b64 v242, v[0:1], v[251:252] offset1:49
	v_add_f64_e64 v[0:1], v[120:121], -v[86:87]
	v_mul_f64_e32 v[86:87], s[24:25], v[106:107]
	v_mul_f64_e32 v[106:107], s[2:3], v[84:85]
	v_fma_f64 v[84:85], v[84:85], s[2:3], -v[226:227]
	s_delay_alu instid0(VALU_DEP_3) | instskip(SKIP_1) | instid1(VALU_DEP_4)
	v_fma_f64 v[86:87], v[0:1], s[4:5], -v[86:87]
	v_fma_f64 v[0:1], v[0:1], s[14:15], -v[222:223]
	;; [unrolled: 1-line block ×3, first 2 shown]
	s_delay_alu instid0(VALU_DEP_4) | instskip(NEXT) | instid1(VALU_DEP_4)
	v_fma_f64 v[84:85], v[224:225], s[0:1], v[84:85]
	v_add_f64_e32 v[86:87], v[86:87], v[220:221]
	s_delay_alu instid0(VALU_DEP_4) | instskip(NEXT) | instid1(VALU_DEP_4)
	v_add_f64_e32 v[0:1], v[0:1], v[220:221]
	v_fma_f64 v[106:107], v[224:225], s[0:1], v[106:107]
	s_delay_alu instid0(VALU_DEP_3) | instskip(SKIP_1) | instid1(VALU_DEP_3)
	v_add_f64_e32 v[120:121], v[84:85], v[86:87]
	v_add_f64_e64 v[84:85], v[86:87], -v[84:85]
	v_add_f64_e64 v[108:109], v[0:1], -v[106:107]
	v_add_f64_e32 v[0:1], v[106:107], v[0:1]
	v_mul_f64_e32 v[86:87], s[2:3], v[214:215]
	ds_store_2addr_b64 v242, v[108:109], v[120:121] offset0:98 offset1:147
	ds_store_2addr_b64 v242, v[84:85], v[0:1] offset0:196 offset1:245
	v_add_f64_e32 v[0:1], v[240:241], v[238:239]
	v_mov_b32_e32 v238, v229
	ds_store_2addr_b64 v229, v[0:1], v[2:3] offset0:38 offset1:87
	v_add_f64_e64 v[0:1], v[94:95], -v[92:93]
	v_add_f64_e64 v[2:3], v[90:91], -v[204:205]
	s_delay_alu instid0(VALU_DEP_2) | instskip(NEXT) | instid1(VALU_DEP_2)
	v_mul_f64_e32 v[0:1], s[18:19], v[0:1]
	v_fma_f64 v[90:91], v[2:3], s[10:11], v[210:211]
	v_fma_f64 v[2:3], v[2:3], s[12:13], -v[86:87]
	s_delay_alu instid0(VALU_DEP_3) | instskip(SKIP_1) | instid1(VALU_DEP_4)
	v_fma_f64 v[84:85], v[206:207], s[24:25], v[0:1]
	v_fma_f64 v[0:1], v[208:209], s[14:15], -v[0:1]
	v_fma_f64 v[86:87], v[218:219], s[0:1], v[90:91]
	s_delay_alu instid0(VALU_DEP_4) | instskip(NEXT) | instid1(VALU_DEP_4)
	v_fma_f64 v[2:3], v[218:219], s[0:1], v[2:3]
	v_add_f64_e32 v[84:85], v[84:85], v[216:217]
	s_delay_alu instid0(VALU_DEP_4) | instskip(NEXT) | instid1(VALU_DEP_2)
	v_add_f64_e32 v[0:1], v[0:1], v[216:217]
	v_add_f64_e64 v[90:91], v[84:85], -v[86:87]
	s_delay_alu instid0(VALU_DEP_2)
	v_add_f64_e64 v[92:93], v[0:1], -v[2:3]
	v_add_f64_e32 v[0:1], v[2:3], v[0:1]
	v_add_f64_e32 v[2:3], v[86:87], v[84:85]
	v_add_f64_e64 v[86:87], v[243:244], -v[88:89]
	v_add_f64_e64 v[84:85], v[96:97], -v[230:231]
	v_add_f64_e32 v[88:89], v[81:82], v[186:187]
	ds_store_2addr_b64 v229, v[90:91], v[92:93] offset0:136 offset1:185
	v_add_f64_e64 v[90:91], v[254:255], -v[190:191]
	ds_store_2addr_b64 v61, v[0:1], v[2:3] offset0:76 offset1:125
	v_add_f64_e32 v[0:1], v[128:129], v[102:103]
	v_add_f64_e32 v[2:3], v[184:185], v[192:193]
	v_add_f64_e64 v[104:105], v[90:91], -v[86:87]
	v_add_f64_e32 v[102:103], v[90:91], v[86:87]
	s_delay_alu instid0(VALU_DEP_4) | instskip(NEXT) | instid1(VALU_DEP_4)
	v_add_f64_e64 v[94:95], v[0:1], -v[88:89]
	v_add_f64_e32 v[92:93], v[2:3], v[0:1]
	v_add_f64_e64 v[0:1], v[2:3], -v[0:1]
	v_add_f64_e64 v[90:91], v[84:85], -v[90:91]
	v_mul_f64_e32 v[104:105], s[22:23], v[104:105]
	v_add_f64_e32 v[102:103], v[102:103], v[84:85]
	v_mul_f64_e32 v[94:95], s[18:19], v[94:95]
	v_add_f64_e32 v[92:93], v[88:89], v[92:93]
	v_add_f64_e64 v[88:89], v[88:89], -v[2:3]
	v_add_f64_e64 v[2:3], v[86:87], -v[84:85]
	v_fma_f64 v[108:109], v[90:91], s[10:11], v[104:105]
	s_delay_alu instid0(VALU_DEP_4) | instskip(NEXT) | instid1(VALU_DEP_4)
	v_add_f64_e32 v[96:97], v[246:247], v[92:93]
	v_mul_f64_e32 v[84:85], s[24:25], v[88:89]
	s_delay_alu instid0(VALU_DEP_4)
	v_fma_f64 v[86:87], v[2:3], s[2:3], -v[104:105]
	v_mul_f64_e32 v[2:3], s[2:3], v[2:3]
	v_fma_f64 v[106:107], v[88:89], s[24:25], v[94:95]
	v_fma_f64 v[108:109], v[102:103], s[0:1], v[108:109]
	;; [unrolled: 1-line block ×3, first 2 shown]
	v_fma_f64 v[84:85], v[0:1], s[4:5], -v[84:85]
	v_fma_f64 v[0:1], v[0:1], s[14:15], -v[94:95]
	;; [unrolled: 1-line block ×3, first 2 shown]
	v_fma_f64 v[86:87], v[102:103], s[0:1], v[86:87]
	v_add_f64_e32 v[106:107], v[106:107], v[92:93]
	v_add_f64_e32 v[84:85], v[84:85], v[92:93]
	v_add_f64_e32 v[0:1], v[0:1], v[92:93]
	v_fma_f64 v[2:3], v[102:103], s[0:1], v[2:3]
	s_delay_alu instid0(VALU_DEP_4) | instskip(NEXT) | instid1(VALU_DEP_4)
	v_add_f64_e64 v[120:121], v[106:107], -v[108:109]
	v_add_f64_e32 v[88:89], v[86:87], v[84:85]
	v_add_f64_e64 v[84:85], v[84:85], -v[86:87]
	s_delay_alu instid0(VALU_DEP_4)
	v_add_f64_e64 v[90:91], v[0:1], -v[2:3]
	v_add_f64_e32 v[0:1], v[2:3], v[0:1]
	v_add_f64_e32 v[2:3], v[171:172], v[73:74]
	v_add_f64_e64 v[86:87], v[138:139], -v[140:141]
	ds_store_2addr_b64 v213, v[96:97], v[120:121] offset0:174 offset1:223
	ds_store_2addr_b64 v117, v[90:91], v[88:89] offset0:16 offset1:65
	;; [unrolled: 1-line block ×3, first 2 shown]
	v_add_f64_e32 v[0:1], v[232:233], v[234:235]
	v_add_f64_e32 v[88:89], v[136:137], v[165:166]
	v_add_f64_e64 v[90:91], v[194:195], -v[154:155]
	v_add_f64_e64 v[84:85], v[150:151], -v[115:116]
	s_delay_alu instid0(VALU_DEP_4) | instskip(NEXT) | instid1(VALU_DEP_4)
	v_add_f64_e32 v[92:93], v[2:3], v[0:1]
	v_add_f64_e64 v[94:95], v[0:1], -v[88:89]
	s_delay_alu instid0(VALU_DEP_4)
	v_add_f64_e64 v[104:105], v[90:91], -v[86:87]
	v_add_f64_e32 v[102:103], v[90:91], v[86:87]
	v_add_f64_e64 v[0:1], v[2:3], -v[0:1]
	v_add_f64_e64 v[90:91], v[84:85], -v[90:91]
	v_add_f64_e32 v[92:93], v[88:89], v[92:93]
	v_add_f64_e64 v[88:89], v[88:89], -v[2:3]
	v_mul_f64_e32 v[104:105], s[22:23], v[104:105]
	v_add_f64_e64 v[2:3], v[86:87], -v[84:85]
	v_mul_f64_e32 v[94:95], s[18:19], v[94:95]
	v_add_f64_e32 v[102:103], v[102:103], v[84:85]
	s_wait_loadcnt 0x0
	v_add_f64_e32 v[96:97], v[41:42], v[92:93]
	scratch_load_b64 v[41:42], off, off offset:68 th:TH_LOAD_LU ; 8-byte Folded Reload
	v_mul_f64_e32 v[84:85], s[24:25], v[88:89]
	v_fma_f64 v[86:87], v[2:3], s[2:3], -v[104:105]
	v_mul_f64_e32 v[2:3], s[2:3], v[2:3]
	v_fma_f64 v[116:117], v[88:89], s[24:25], v[94:95]
	v_fma_f64 v[120:121], v[90:91], s[10:11], v[104:105]
	;; [unrolled: 1-line block ×3, first 2 shown]
	v_fma_f64 v[84:85], v[0:1], s[4:5], -v[84:85]
	v_fma_f64 v[0:1], v[0:1], s[14:15], -v[94:95]
	;; [unrolled: 1-line block ×3, first 2 shown]
	v_fma_f64 v[86:87], v[102:103], s[0:1], v[86:87]
	v_fma_f64 v[120:121], v[102:103], s[0:1], v[120:121]
	v_add_f64_e32 v[116:117], v[116:117], v[92:93]
	v_add_f64_e32 v[84:85], v[84:85], v[92:93]
	;; [unrolled: 1-line block ×3, first 2 shown]
	v_fma_f64 v[2:3], v[102:103], s[0:1], v[2:3]
	s_delay_alu instid0(VALU_DEP_4) | instskip(NEXT) | instid1(VALU_DEP_4)
	v_add_f64_e64 v[122:123], v[116:117], -v[120:121]
	v_add_f64_e32 v[88:89], v[86:87], v[84:85]
	v_add_f64_e64 v[84:85], v[84:85], -v[86:87]
	s_delay_alu instid0(VALU_DEP_4)
	v_add_f64_e64 v[90:91], v[0:1], -v[2:3]
	v_add_f64_e32 v[0:1], v[2:3], v[0:1]
	v_add_f64_e32 v[2:3], v[66:67], v[180:181]
	v_add_f64_e64 v[86:87], v[124:125], -v[111:112]
	ds_store_2addr_b64 v133, v[96:97], v[122:123] offset0:5 offset1:54
	ds_store_2addr_b64 v133, v[90:91], v[88:89] offset0:103 offset1:152
	;; [unrolled: 1-line block ×3, first 2 shown]
	v_add_f64_e32 v[0:1], v[152:153], v[148:149]
	v_add_f64_e64 v[90:91], v[130:131], -v[176:177]
	v_add_f64_e64 v[84:85], v[169:170], -v[113:114]
	v_add_f64_e32 v[88:89], v[68:69], v[70:71]
	s_delay_alu instid0(VALU_DEP_4) | instskip(NEXT) | instid1(VALU_DEP_4)
	v_add_f64_e32 v[92:93], v[2:3], v[0:1]
	v_add_f64_e64 v[104:105], v[90:91], -v[86:87]
	v_add_f64_e32 v[102:103], v[90:91], v[86:87]
	s_delay_alu instid0(VALU_DEP_4)
	v_add_f64_e64 v[94:95], v[0:1], -v[88:89]
	v_add_f64_e64 v[0:1], v[2:3], -v[0:1]
	;; [unrolled: 1-line block ×3, first 2 shown]
	v_add_f64_e32 v[92:93], v[88:89], v[92:93]
	v_add_f64_e64 v[88:89], v[88:89], -v[2:3]
	v_mul_f64_e32 v[104:105], s[22:23], v[104:105]
	v_add_f64_e64 v[2:3], v[86:87], -v[84:85]
	v_mul_f64_e32 v[94:95], s[18:19], v[94:95]
	v_add_f64_e32 v[102:103], v[102:103], v[84:85]
	v_mul_f64_e32 v[84:85], s[24:25], v[88:89]
	v_fma_f64 v[136:137], v[90:91], s[10:11], v[104:105]
	v_fma_f64 v[86:87], v[2:3], s[2:3], -v[104:105]
	v_mul_f64_e32 v[2:3], s[2:3], v[2:3]
	v_fma_f64 v[122:123], v[88:89], s[24:25], v[94:95]
	v_fma_f64 v[84:85], v[0:1], s[4:5], -v[84:85]
	v_fma_f64 v[0:1], v[0:1], s[14:15], -v[94:95]
	v_fma_f64 v[86:87], v[102:103], s[0:1], v[86:87]
	v_fma_f64 v[2:3], v[90:91], s[12:13], -v[2:3]
	v_fma_f64 v[136:137], v[102:103], s[0:1], v[136:137]
	s_wait_loadcnt 0x0
	v_add_f64_e32 v[96:97], v[41:42], v[92:93]
	s_delay_alu instid0(VALU_DEP_3) | instskip(NEXT) | instid1(VALU_DEP_2)
	v_fma_f64 v[2:3], v[102:103], s[0:1], v[2:3]
	v_fma_f64 v[92:93], v[92:93], s[20:21], v[96:97]
	s_delay_alu instid0(VALU_DEP_1) | instskip(SKIP_2) | instid1(VALU_DEP_3)
	v_add_f64_e32 v[0:1], v[0:1], v[92:93]
	v_add_f64_e32 v[84:85], v[84:85], v[92:93]
	;; [unrolled: 1-line block ×3, first 2 shown]
	v_add_f64_e64 v[90:91], v[0:1], -v[2:3]
	v_add_f64_e32 v[0:1], v[2:3], v[0:1]
	v_add_f64_e32 v[2:3], v[142:143], v[34:35]
	scratch_load_b64 v[34:35], off, off offset:52 th:TH_LOAD_LU ; 8-byte Folded Reload
	v_add_f64_e32 v[88:89], v[86:87], v[84:85]
	v_add_f64_e64 v[84:85], v[84:85], -v[86:87]
	v_add_f64_e64 v[86:87], v[79:80], -v[174:175]
	;; [unrolled: 1-line block ×3, first 2 shown]
	ds_store_2addr_b64 v135, v[90:91], v[88:89] offset0:190 offset1:239
	ds_store_2addr_b64 v126, v[84:85], v[0:1] offset0:32 offset1:81
	v_add_f64_e32 v[0:1], v[62:63], v[163:164]
	v_add_f64_e64 v[90:91], v[202:203], -v[100:101]
	v_add_f64_e64 v[84:85], v[236:237], -v[188:189]
	v_add_f64_e32 v[88:89], v[64:65], v[167:168]
	ds_store_2addr_b64 v135, v[96:97], v[138:139] offset0:92 offset1:141
	v_add_f64_e32 v[92:93], v[2:3], v[0:1]
	v_add_f64_e64 v[104:105], v[90:91], -v[86:87]
	v_add_f64_e32 v[102:103], v[90:91], v[86:87]
	v_add_f64_e64 v[94:95], v[0:1], -v[88:89]
	v_add_f64_e64 v[0:1], v[2:3], -v[0:1]
	;; [unrolled: 1-line block ×3, first 2 shown]
	v_add_f64_e32 v[92:93], v[88:89], v[92:93]
	v_add_f64_e64 v[88:89], v[88:89], -v[2:3]
	v_mul_f64_e32 v[104:105], s[22:23], v[104:105]
	v_add_f64_e64 v[2:3], v[86:87], -v[84:85]
	v_mul_f64_e32 v[94:95], s[18:19], v[94:95]
	v_add_f64_e32 v[102:103], v[102:103], v[84:85]
	v_mul_f64_e32 v[84:85], s[24:25], v[88:89]
	v_fma_f64 v[114:115], v[90:91], s[10:11], v[104:105]
	v_fma_f64 v[86:87], v[2:3], s[2:3], -v[104:105]
	v_mul_f64_e32 v[2:3], s[2:3], v[2:3]
	v_fma_f64 v[112:113], v[88:89], s[24:25], v[94:95]
	v_fma_f64 v[84:85], v[0:1], s[4:5], -v[84:85]
	v_fma_f64 v[0:1], v[0:1], s[14:15], -v[94:95]
	v_fma_f64 v[86:87], v[102:103], s[0:1], v[86:87]
	v_fma_f64 v[2:3], v[90:91], s[12:13], -v[2:3]
	v_fma_f64 v[114:115], v[102:103], s[0:1], v[114:115]
	s_delay_alu instid0(VALU_DEP_2) | instskip(SKIP_2) | instid1(VALU_DEP_1)
	v_fma_f64 v[2:3], v[102:103], s[0:1], v[2:3]
	s_wait_loadcnt 0x0
	v_add_f64_e32 v[96:97], v[34:35], v[92:93]
	v_fma_f64 v[92:93], v[92:93], s[20:21], v[96:97]
	s_delay_alu instid0(VALU_DEP_1) | instskip(SKIP_2) | instid1(VALU_DEP_3)
	v_add_f64_e32 v[84:85], v[84:85], v[92:93]
	v_add_f64_e32 v[0:1], v[0:1], v[92:93]
	;; [unrolled: 1-line block ×4, first 2 shown]
	s_delay_alu instid0(VALU_DEP_3)
	v_add_f64_e64 v[90:91], v[0:1], -v[2:3]
	v_add_f64_e64 v[84:85], v[84:85], -v[86:87]
	v_add_f64_e32 v[0:1], v[2:3], v[0:1]
	v_add_f64_e32 v[2:3], v[161:162], v[157:158]
	v_add_f64_e64 v[86:87], v[159:160], -v[182:183]
	v_add_f64_e64 v[128:129], v[112:113], -v[114:115]
	ds_store_2addr_b64 v127, v[90:91], v[88:89] offset0:21 offset1:70
	v_add_f64_e32 v[88:89], v[32:33], v[22:23]
	scratch_load_b64 v[22:23], off, off offset:36 th:TH_LOAD_LU ; 8-byte Folded Reload
	ds_store_2addr_b64 v127, v[84:85], v[0:1] offset0:119 offset1:168
	v_add_f64_e32 v[0:1], v[144:145], v[249:250]
	v_add_f64_e64 v[90:91], v[75:76], -v[77:78]
	v_add_f64_e64 v[84:85], v[146:147], -v[178:179]
	ds_store_2addr_b64 v119, v[96:97], v[128:129] offset0:179 offset1:228
	v_add_f64_e32 v[92:93], v[2:3], v[0:1]
	v_add_f64_e64 v[102:103], v[90:91], -v[86:87]
	v_add_f64_e64 v[94:95], v[0:1], -v[88:89]
	v_add_f64_e32 v[100:101], v[90:91], v[86:87]
	v_add_f64_e64 v[0:1], v[2:3], -v[0:1]
	v_add_f64_e64 v[90:91], v[84:85], -v[90:91]
	v_add_f64_e32 v[92:93], v[88:89], v[92:93]
	v_add_f64_e64 v[88:89], v[88:89], -v[2:3]
	v_mul_f64_e32 v[102:103], s[22:23], v[102:103]
	v_add_f64_e64 v[2:3], v[86:87], -v[84:85]
	v_mul_f64_e32 v[94:95], s[18:19], v[94:95]
	v_add_f64_e32 v[100:101], v[100:101], v[84:85]
	v_mul_f64_e32 v[84:85], s[24:25], v[88:89]
	v_fma_f64 v[118:119], v[90:91], s[10:11], v[102:103]
	v_fma_f64 v[86:87], v[2:3], s[2:3], -v[102:103]
	v_mul_f64_e32 v[2:3], s[2:3], v[2:3]
	v_fma_f64 v[104:105], v[88:89], s[24:25], v[94:95]
	v_fma_f64 v[84:85], v[0:1], s[4:5], -v[84:85]
	v_fma_f64 v[0:1], v[0:1], s[14:15], -v[94:95]
	v_fma_f64 v[86:87], v[100:101], s[0:1], v[86:87]
	v_fma_f64 v[2:3], v[90:91], s[12:13], -v[2:3]
	v_fma_f64 v[118:119], v[100:101], s[0:1], v[118:119]
	s_delay_alu instid0(VALU_DEP_2) | instskip(SKIP_2) | instid1(VALU_DEP_1)
	v_fma_f64 v[2:3], v[100:101], s[0:1], v[2:3]
	s_wait_loadcnt 0x0
	v_add_f64_e32 v[96:97], v[22:23], v[92:93]
	v_fma_f64 v[92:93], v[92:93], s[20:21], v[96:97]
	s_delay_alu instid0(VALU_DEP_1) | instskip(SKIP_2) | instid1(VALU_DEP_3)
	v_add_f64_e32 v[84:85], v[84:85], v[92:93]
	v_add_f64_e32 v[0:1], v[0:1], v[92:93]
	;; [unrolled: 1-line block ×4, first 2 shown]
	s_delay_alu instid0(VALU_DEP_3)
	v_add_f64_e64 v[90:91], v[0:1], -v[2:3]
	v_add_f64_e64 v[84:85], v[84:85], -v[86:87]
	v_add_f64_e32 v[0:1], v[2:3], v[0:1]
	v_add_f64_e32 v[2:3], v[120:121], v[116:117]
	v_add_f64_e64 v[124:125], v[104:105], -v[118:119]
	ds_store_2addr_b64 v134, v[90:91], v[88:89] offset0:108 offset1:157
	ds_store_2addr_b64 v134, v[84:85], v[0:1] offset0:206 offset1:255
	v_add_f64_e32 v[0:1], v[108:109], v[106:107]
	ds_store_b64 v99, v[2:3] offset:10584
	v_add_f64_e32 v[2:3], v[114:115], v[112:113]
	ds_store_2addr_b64 v134, v[96:97], v[124:125] offset0:10 offset1:59
	ds_store_b64 v98, v[0:1] offset:7840
	v_add_f64_e32 v[0:1], v[136:137], v[122:123]
	ds_store_b64 v201, v[0:1] offset:13328
	ds_store_b64 v110, v[2:3] offset:16072
	v_add_f64_e32 v[0:1], v[118:119], v[104:105]
	ds_store_b64 v132, v[0:1] offset:18816
	global_wb scope:SCOPE_SE
	s_wait_dscnt 0x0
	s_barrier_signal -1
	s_barrier_wait -1
	global_inv scope:SCOPE_SE
	s_and_saveexec_b32 s28, vcc_lo
	s_cbranch_execz .LBB0_15
; %bb.14:
	s_clause 0x1
	scratch_load_b32 v231, off, off offset:384 th:TH_LOAD_LU
	scratch_load_b32 v0, off, off offset:532 th:TH_LOAD_LU
	v_mov_b32_e32 v99, 0
	s_wait_loadcnt 0x1
	v_mul_i32_i24_e32 v98, 6, v231
	s_wait_loadcnt 0x0
	v_add_co_u32 v100, s28, s8, v0
	s_wait_alu 0xf1fe
	v_add_co_ci_u32_e64 v101, null, s9, 0, s28
	v_lshlrev_b64_e32 v[102:103], 4, v[98:99]
	global_load_b128 v[0:3], v[100:101], off offset:5392
	v_add_co_u32 v88, vcc_lo, s8, v102
	s_wait_alu 0xfffd
	v_add_co_ci_u32_e32 v89, vcc_lo, s9, v103, vcc_lo
	s_clause 0x4
	global_load_b128 v[84:87], v[88:89], off offset:5376
	global_load_b128 v[94:97], v[100:101], off offset:5456
	;; [unrolled: 1-line block ×5, first 2 shown]
	scratch_load_b32 v90, off, off offset:296 th:TH_LOAD_LU ; 4-byte Folded Reload
	s_wait_loadcnt 0x5
	v_mul_f64_e32 v[205:206], v[37:38], v[86:87]
	s_wait_loadcnt 0x0
	v_mul_i32_i24_e32 v98, 6, v90
	s_delay_alu instid0(VALU_DEP_1) | instskip(NEXT) | instid1(VALU_DEP_1)
	v_lshlrev_b64_e32 v[90:91], 4, v[98:99]
	v_add_co_u32 v90, vcc_lo, s8, v90
	s_wait_alu 0xfffd
	s_delay_alu instid0(VALU_DEP_2)
	v_add_co_ci_u32_e32 v91, vcc_lo, s9, v91, vcc_lo
	s_clause 0x5
	global_load_b128 v[119:122], v[88:89], off offset:5456
	global_load_b128 v[123:126], v[90:91], off offset:5456
	global_load_b128 v[127:130], v[88:89], off offset:5392
	global_load_b128 v[131:134], v[90:91], off offset:5392
	global_load_b128 v[135:138], v[88:89], off offset:5424
	global_load_b128 v[139:142], v[90:91], off offset:5424
	scratch_load_b32 v88, off, off offset:136 th:TH_LOAD_LU ; 4-byte Folded Reload
	global_load_b128 v[143:146], v[90:91], off offset:5376
	s_wait_loadcnt 0x1
	v_mul_i32_i24_e32 v98, 6, v88
	s_delay_alu instid0(VALU_DEP_1) | instskip(NEXT) | instid1(VALU_DEP_1)
	v_lshlrev_b64_e32 v[88:89], 4, v[98:99]
	v_add_co_u32 v92, vcc_lo, s8, v88
	s_wait_alu 0xfffd
	s_delay_alu instid0(VALU_DEP_2)
	v_add_co_ci_u32_e32 v93, vcc_lo, s9, v89, vcc_lo
	global_load_b128 v[147:150], v[92:93], off offset:5376
	scratch_load_b32 v227, off, off offset:192 th:TH_LOAD_LU ; 4-byte Folded Reload
	s_clause 0x4
	global_load_b128 v[151:154], v[90:91], off offset:5440
	global_load_b128 v[155:158], v[92:93], off offset:5440
	;; [unrolled: 1-line block ×5, first 2 shown]
	scratch_load_b32 v88, off, off offset:132 th:TH_LOAD_LU ; 4-byte Folded Reload
	ds_load_2addr_b64 v[171:174], v61 offset0:125 offset1:174
	s_wait_dscnt 0x0
	v_mul_f64_e32 v[106:107], v[2:3], v[173:174]
	v_mul_f64_e32 v[2:3], v[39:40], v[2:3]
	;; [unrolled: 1-line block ×3, first 2 shown]
	v_fma_f64 v[171:172], v[84:85], v[171:172], -v[205:206]
	s_delay_alu instid0(VALU_DEP_4) | instskip(NEXT) | instid1(VALU_DEP_4)
	v_fma_f64 v[209:210], v[39:40], v[0:1], v[106:107]
	v_fma_f64 v[173:174], v[0:1], v[173:174], -v[2:3]
	s_delay_alu instid0(VALU_DEP_4) | instskip(SKIP_3) | instid1(VALU_DEP_1)
	v_fma_f64 v[108:109], v[37:38], v[84:85], v[108:109]
	v_mul_f64_e32 v[84:85], v[28:29], v[104:105]
	s_wait_loadcnt 0x0
	v_mul_i32_i24_e32 v98, 6, v88
	v_lshlrev_b64_e32 v[88:89], 4, v[98:99]
	v_mul_i32_i24_e32 v98, 6, v253
	s_delay_alu instid0(VALU_DEP_2) | instskip(SKIP_1) | instid1(VALU_DEP_3)
	v_add_co_u32 v90, vcc_lo, s8, v88
	s_wait_alu 0xfffd
	v_add_co_ci_u32_e32 v91, vcc_lo, s9, v89, vcc_lo
	s_clause 0x3
	global_load_b128 v[175:178], v[90:91], off offset:5456
	global_load_b128 v[179:182], v[92:93], off offset:5392
	;; [unrolled: 1-line block ×4, first 2 shown]
	s_clause 0x4
	scratch_load_b32 v88, off, off offset:288 th:TH_LOAD_LU
	scratch_load_b32 v76, off, off offset:200 th:TH_LOAD_LU
	scratch_load_b32 v224, off, off offset:176 th:TH_LOAD_LU
	scratch_load_b32 v223, off, off offset:168 th:TH_LOAD_LU
	scratch_load_b32 v195, off, off offset:140 th:TH_LOAD_LU
	s_clause 0x1
	global_load_b128 v[201:204], v[92:93], off offset:5424
	global_load_b128 v[64:67], v[90:91], off offset:5440
	ds_load_2addr_b64 v[72:75], v16 offset0:81 offset1:130
	s_clause 0x1
	global_load_b128 v[80:83], v[90:91], off offset:5424
	global_load_b128 v[68:71], v[90:91], off offset:5376
	s_wait_loadcnt 0x8
	ds_load_2addr_b64 v[191:194], v88 offset0:89 offset1:138
	global_load_b128 v[86:89], v[100:101], off offset:5440
	s_wait_loadcnt 0x8
	ds_load_2addr_b64 v[76:79], v76 offset0:127 offset1:176
	s_wait_loadcnt 0x5
	ds_load_2addr_b64 v[0:3], v195 offset0:43 offset1:92
	s_wait_dscnt 0x2
	v_mul_f64_e32 v[207:208], v[96:97], v[193:194]
	v_mul_f64_e32 v[96:97], v[30:31], v[96:97]
	;; [unrolled: 1-line block ×3, first 2 shown]
	global_load_b128 v[104:107], v[100:101], off offset:5408
	s_wait_dscnt 0x0
	v_mul_f64_e32 v[205:206], v[112:113], v[2:3]
	v_mul_f64_e32 v[112:113], v[14:15], v[112:113]
	v_fma_f64 v[191:192], v[102:103], v[191:192], -v[84:85]
	v_mul_f64_e32 v[84:85], v[121:122], v[78:79]
	v_fma_f64 v[207:208], v[30:31], v[94:95], v[207:208]
	v_fma_f64 v[100:101], v[94:95], v[193:194], -v[96:97]
	ds_load_2addr_b64 v[94:97], v224 offset0:163 offset1:212
	v_mul_f64_e32 v[193:194], v[116:117], v[0:1]
	v_fma_f64 v[92:93], v[28:29], v[102:103], v[92:93]
	v_mul_f64_e32 v[116:117], v[12:13], v[116:117]
	v_mul_f64_e32 v[102:103], v[26:27], v[121:122]
	;; [unrolled: 1-line block ×3, first 2 shown]
	v_fma_f64 v[205:206], v[14:15], v[110:111], v[205:206]
	v_fma_f64 v[211:212], v[110:111], v[2:3], -v[112:113]
	v_mul_f64_e32 v[110:111], v[24:25], v[125:126]
	v_lshlrev_b64_e32 v[2:3], 4, v[98:99]
	s_delay_alu instid0(VALU_DEP_1) | instskip(SKIP_1) | instid1(VALU_DEP_2)
	v_add_co_u32 v213, vcc_lo, s8, v2
	s_wait_alu 0xfffd
	v_add_co_ci_u32_e32 v214, vcc_lo, s9, v3, vcc_lo
	s_wait_dscnt 0x0
	v_mul_f64_e32 v[112:113], v[129:130], v[96:97]
	v_fma_f64 v[193:194], v[12:13], v[114:115], v[193:194]
	v_fma_f64 v[125:126], v[114:115], v[0:1], -v[116:117]
	v_mul_f64_e32 v[114:115], v[10:11], v[129:130]
	v_mul_f64_e32 v[116:117], v[133:134], v[94:95]
	v_fma_f64 v[129:130], v[26:27], v[119:120], v[84:85]
	v_fma_f64 v[215:216], v[119:120], v[78:79], -v[102:103]
	v_fma_f64 v[217:218], v[24:25], v[123:124], v[121:122]
	v_mul_f64_e32 v[84:85], v[8:9], v[133:134]
	v_fma_f64 v[123:124], v[123:124], v[76:77], -v[110:111]
	v_mul_f64_e32 v[110:111], v[20:21], v[137:138]
	v_mul_f64_e32 v[118:119], v[141:142], v[72:73]
	global_load_b128 v[0:3], v[213:214], off offset:5376
	v_mul_f64_e32 v[102:103], v[137:138], v[74:75]
	ds_load_2addr_b64 v[76:79], v61 offset0:27 offset1:76
	ds_load_2addr_b64 v[60:63], v223 offset0:119 offset1:168
	v_fma_f64 v[133:134], v[10:11], v[127:128], v[112:113]
	v_mul_f64_e32 v[112:113], v[18:19], v[141:142]
	v_fma_f64 v[127:128], v[127:128], v[96:97], -v[114:115]
	v_fma_f64 v[141:142], v[8:9], v[131:132], v[116:117]
	v_mul_f64_e32 v[114:115], v[58:59], v[145:146]
	v_mul_f64_e32 v[116:117], v[56:57], v[149:150]
	v_fma_f64 v[131:132], v[131:132], v[94:95], -v[84:85]
	global_load_b128 v[94:97], v[213:214], off offset:5440
	v_fma_f64 v[219:220], v[135:136], v[74:75], -v[110:111]
	v_fma_f64 v[221:222], v[18:19], v[139:140], v[118:119]
	s_wait_dscnt 0x1
	v_mul_f64_e32 v[84:85], v[145:146], v[78:79]
	v_fma_f64 v[145:146], v[20:21], v[135:136], v[102:103]
	v_mul_f64_e32 v[102:103], v[149:150], v[76:77]
	v_mul_f64_e32 v[135:136], v[46:47], v[169:170]
	v_fma_f64 v[138:139], v[139:140], v[72:73], -v[112:113]
	s_clause 0x1
	global_load_b128 v[72:75], v[90:91], off offset:5408
	global_load_b128 v[110:113], v[213:214], off offset:5408
	scratch_load_b32 v137, off, off offset:160 th:TH_LOAD_LU ; 4-byte Folded Reload
	s_wait_dscnt 0x0
	v_mul_f64_e32 v[90:91], v[153:154], v[62:63]
	v_fma_f64 v[149:150], v[58:59], v[143:144], v[84:85]
	v_fma_f64 v[143:144], v[143:144], v[78:79], -v[114:115]
	v_mul_f64_e32 v[84:85], v[54:55], v[153:154]
	v_fma_f64 v[153:154], v[56:57], v[147:148], v[102:103]
	v_fma_f64 v[147:148], v[147:148], v[76:77], -v[116:117]
	v_mul_f64_e32 v[114:115], v[157:158], v[60:61]
	v_mul_f64_e32 v[102:103], v[52:53], v[157:158]
	s_wait_loadcnt 0x0
	ds_load_2addr_b64 v[56:59], v137 offset0:201 offset1:250
	ds_load_2addr_b64 v[76:79], v227 offset0:157 offset1:206
	scratch_load_b128 v[8:11], off, off offset:516 th:TH_LOAD_LU ; 16-byte Folded Reload
	v_fma_f64 v[157:158], v[52:53], v[155:156], v[114:115]
	v_fma_f64 v[155:156], v[155:156], v[60:61], -v[102:103]
	v_mul_f64_e32 v[102:103], v[48:49], v[165:166]
	v_fma_f64 v[90:91], v[54:55], v[151:152], v[90:91]
	v_fma_f64 v[151:152], v[151:152], v[62:63], -v[84:85]
	ds_load_2addr_b64 v[60:63], v224 offset0:65 offset1:114
	s_clause 0x1
	scratch_load_b32 v98, off, off offset:316 th:TH_LOAD_LU
	scratch_load_b128 v[18:21], off, off offset:420 th:TH_LOAD_LU
	v_mul_f64_e32 v[84:85], v[50:51], v[161:162]
	global_load_b128 v[52:55], v[213:214], off offset:5456
	ds_load_2addr_b64 v[36:39], v238 offset0:185 offset1:234
	ds_load_2addr_b64 v[24:27], v227 offset0:59 offset1:108
	scratch_load_b128 v[227:230], off, off offset:368 th:TH_LOAD_LU ; 16-byte Folded Reload
	ds_load_2addr_b64 v[28:31], v238 offset0:87 offset1:136
	s_wait_dscnt 0x5
	v_mul_f64_e32 v[118:119], v[165:166], v[56:57]
	s_wait_dscnt 0x4
	v_mul_f64_e32 v[120:121], v[169:170], v[78:79]
	v_mul_f64_e32 v[116:117], v[161:162], v[58:59]
	s_delay_alu instid0(VALU_DEP_3) | instskip(SKIP_3) | instid1(VALU_DEP_4)
	v_fma_f64 v[165:166], v[48:49], v[163:164], v[118:119]
	v_fma_f64 v[163:164], v[163:164], v[56:57], -v[102:103]
	s_wait_dscnt 0x3
	v_mul_f64_e32 v[102:103], v[181:182], v[62:63]
	v_fma_f64 v[161:162], v[50:51], v[159:160], v[116:117]
	v_fma_f64 v[159:160], v[159:160], v[58:59], -v[84:85]
	v_mul_f64_e32 v[84:85], v[177:178], v[76:77]
	s_clause 0x1
	global_load_b128 v[114:117], v[213:214], off offset:5392
	global_load_b128 v[48:51], v[213:214], off offset:5424
	v_mul_f64_e32 v[118:119], v[44:45], v[177:178]
	v_mul_f64_e32 v[177:178], v[185:186], v[60:61]
	s_wait_loadcnt 0x6
	v_mul_f64_e32 v[169:170], v[10:11], v[181:182]
	v_fma_f64 v[181:182], v[46:47], v[167:168], v[120:121]
	scratch_load_b32 v46, off, off offset:184 th:TH_LOAD_LU ; 4-byte Folded Reload
	v_fma_f64 v[167:168], v[167:168], v[78:79], -v[135:136]
	v_mul_f64_e32 v[135:136], v[8:9], v[185:186]
	v_fma_f64 v[185:186], v[44:45], v[175:176], v[84:85]
	v_fma_f64 v[213:214], v[10:11], v[179:180], v[102:103]
	s_wait_loadcnt 0x6
	v_mul_i32_i24_e32 v98, 6, v98
	v_fma_f64 v[175:176], v[175:176], v[76:77], -v[118:119]
	v_fma_f64 v[177:178], v[8:9], v[183:184], v[177:178]
	scratch_load_b128 v[8:11], off, off offset:484 th:TH_LOAD_LU ; 16-byte Folded Reload
	v_lshlrev_b64_e32 v[98:99], 4, v[98:99]
	s_delay_alu instid0(VALU_DEP_1) | instskip(SKIP_1) | instid1(VALU_DEP_2)
	v_add_co_u32 v98, vcc_lo, s8, v98
	s_wait_alu 0xfffd
	v_add_co_ci_u32_e32 v99, vcc_lo, s9, v99, vcc_lo
	s_clause 0x2
	global_load_b128 v[76:79], v[98:99], off offset:5376
	global_load_b128 v[119:122], v[98:99], off offset:5408
	;; [unrolled: 1-line block ×3, first 2 shown]
	v_fma_f64 v[169:170], v[179:180], v[62:63], -v[169:170]
	v_fma_f64 v[179:180], v[183:184], v[60:61], -v[135:136]
	global_load_b128 v[60:63], v[98:99], off offset:5392
	v_mul_f64_e32 v[135:136], v[4:5], v[82:83]
	s_wait_loadcnt 0x5
	ds_load_2addr_b64 v[56:59], v46 offset0:111 offset1:160
	global_load_b128 v[44:47], v[98:99], off offset:5456
	s_wait_dscnt 0x0
	v_mul_f64_e32 v[84:85], v[203:204], v[58:59]
	v_mul_f64_e32 v[102:103], v[82:83], v[56:57]
	;; [unrolled: 1-line block ×3, first 2 shown]
	s_delay_alu instid0(VALU_DEP_3)
	v_fma_f64 v[183:184], v[6:7], v[201:202], v[84:85]
	global_load_b128 v[82:85], v[98:99], off offset:5440
	v_fma_f64 v[98:99], v[4:5], v[80:81], v[102:103]
	scratch_load_b128 v[4:7], off, off offset:500 th:TH_LOAD_LU ; 16-byte Folded Reload
	v_fma_f64 v[201:202], v[201:202], v[58:59], -v[203:204]
	v_mul_f64_e32 v[58:59], v[70:71], v[38:39]
	v_fma_f64 v[80:81], v[80:81], v[56:57], -v[135:136]
	v_mul_f64_e32 v[135:136], v[54:55], v[26:27]
	s_wait_loadcnt 0x0
	v_mul_f64_e32 v[56:57], v[6:7], v[70:71]
	v_mul_f64_e32 v[70:71], v[2:3], v[36:37]
	;; [unrolled: 1-line block ×3, first 2 shown]
	v_fma_f64 v[203:204], v[6:7], v[68:69], v[58:59]
	s_delay_alu instid0(VALU_DEP_4)
	v_fma_f64 v[68:69], v[68:69], v[38:39], -v[56:57]
	ds_load_2addr_b64 v[56:59], v223 offset0:21 offset1:70
	v_fma_f64 v[70:71], v[4:5], v[0:1], v[70:71]
	scratch_load_b128 v[4:7], off, off offset:468 th:TH_LOAD_LU ; 16-byte Folded Reload
	v_mul_f64_e32 v[32:33], v[10:11], v[66:67]
	s_wait_dscnt 0x0
	v_mul_f64_e32 v[34:35], v[66:67], v[58:59]
	v_mul_f64_e32 v[38:39], v[96:97], v[56:57]
	v_fma_f64 v[66:67], v[0:1], v[36:37], -v[2:3]
	v_mul_f64_e32 v[36:37], v[8:9], v[96:97]
	ds_load_2addr_b64 v[0:3], v137 offset0:103 offset1:152
	v_fma_f64 v[58:59], v[64:65], v[58:59], -v[32:33]
	s_wait_dscnt 0x0
	v_mul_f64_e32 v[96:97], v[74:75], v[2:3]
	v_fma_f64 v[223:224], v[10:11], v[64:65], v[34:35]
	v_fma_f64 v[225:226], v[8:9], v[94:95], v[38:39]
	scratch_load_b128 v[8:11], off, off offset:436 th:TH_LOAD_LU ; 16-byte Folded Reload
	v_fma_f64 v[94:95], v[94:95], v[56:57], -v[36:37]
	ds_load_2addr_b64 v[36:39], v137 offset0:5 offset1:54
	ds_load_2addr_b64 v[32:35], v16 offset0:179 offset1:228
	scratch_load_b128 v[14:17], off, off offset:452 th:TH_LOAD_LU ; 16-byte Folded Reload
	v_mul_f64_e32 v[56:57], v[189:190], v[28:29]
	s_delay_alu instid0(VALU_DEP_1)
	v_fma_f64 v[12:13], v[18:19], v[187:188], v[56:57]
	s_wait_loadcnt 0x2
	v_mul_f64_e32 v[64:65], v[6:7], v[74:75]
	v_mul_f64_e32 v[74:75], v[112:113], v[0:1]
	;; [unrolled: 1-line block ×3, first 2 shown]
	v_fma_f64 v[96:97], v[6:7], v[72:73], v[96:97]
	v_mul_f64_e32 v[112:113], v[18:19], v[189:190]
	v_fma_f64 v[64:65], v[72:73], v[2:3], -v[64:65]
	v_fma_f64 v[72:73], v[4:5], v[110:111], v[74:75]
	v_fma_f64 v[110:111], v[110:111], v[0:1], -v[102:103]
	scratch_load_b32 v0, off, off offset:152 th:TH_LOAD_LU ; 4-byte Folded Reload
	s_wait_dscnt 0x1
	v_mul_f64_e32 v[102:103], v[106:107], v[36:37]
	scratch_load_b128 v[4:7], off, off offset:388 th:TH_LOAD_LU ; 16-byte Folded Reload
	s_wait_dscnt 0x0
	v_mul_f64_e32 v[74:75], v[88:89], v[32:33]
	v_mul_f64_e32 v[88:89], v[227:228], v[88:89]
	v_fma_f64 v[112:113], v[187:188], v[28:29], -v[112:113]
	v_add_f64_e32 v[187:188], v[12:13], v[207:208]
	s_wait_loadcnt 0x3
	v_mul_f64_e32 v[106:107], v[8:9], v[106:107]
	s_wait_loadcnt 0x2
	v_mul_f64_e32 v[28:29], v[16:17], v[54:55]
	ds_load_2addr_b64 v[54:57], v195 offset0:141 offset1:190
	v_fma_f64 v[22:23], v[16:17], v[52:53], v[135:136]
	v_dual_mov_b32 v16, v20 :: v_dual_mov_b32 v17, v21
	v_mul_f64_e32 v[20:21], v[14:15], v[46:47]
	v_mad_co_u64_u32 v[136:137], null, s26, v198, 0
	v_fma_f64 v[8:9], v[8:9], v[104:105], v[102:103]
	v_fma_f64 v[74:75], v[227:228], v[86:87], v[74:75]
	v_fma_f64 v[32:33], v[86:87], v[32:33], -v[88:89]
	v_fma_f64 v[36:37], v[104:105], v[36:37], -v[106:107]
	scratch_load_b128 v[102:105], off, off offset:404 th:TH_LOAD_LU ; 16-byte Folded Reload
	v_add_f64_e32 v[106:107], v[149:150], v[217:218]
	v_fma_f64 v[26:27], v[52:53], v[26:27], -v[28:29]
	s_wait_dscnt 0x0
	v_mul_f64_e32 v[28:29], v[50:51], v[56:57]
	v_mul_f64_e32 v[52:53], v[46:47], v[24:25]
	v_fma_f64 v[20:21], v[44:45], v[24:25], -v[20:21]
	v_add_f64_e32 v[189:190], v[209:210], v[74:75]
	s_delay_alu instid0(VALU_DEP_3) | instskip(SKIP_2) | instid1(VALU_DEP_2)
	v_fma_f64 v[52:53], v[14:15], v[44:45], v[52:53]
	v_mul_f64_e32 v[14:15], v[16:17], v[78:79]
	v_add_f64_e64 v[44:45], v[171:172], -v[215:216]
	v_fma_f64 v[14:15], v[76:77], v[30:31], -v[14:15]
	s_wait_loadcnt 0x2
	ds_load_2addr_b64 v[0:3], v0 offset0:95 offset1:144
	s_wait_loadcnt 0x1
	v_mul_f64_e32 v[88:89], v[6:7], v[116:117]
	s_wait_dscnt 0x0
	v_mul_f64_e32 v[86:87], v[116:117], v[2:3]
	v_mul_f64_e32 v[46:47], v[62:63], v[0:1]
	v_add_f64_e32 v[116:117], v[112:113], v[100:101]
	s_delay_alu instid0(VALU_DEP_4)
	v_fma_f64 v[2:3], v[114:115], v[2:3], -v[88:89]
	s_wait_loadcnt 0x0
	v_mul_f64_e32 v[50:51], v[104:105], v[50:51]
	v_fma_f64 v[18:19], v[104:105], v[48:49], v[28:29]
	v_fma_f64 v[6:7], v[6:7], v[114:115], v[86:87]
	v_mul_f64_e32 v[86:87], v[78:79], v[30:31]
	v_mul_f64_e32 v[78:79], v[84:85], v[34:35]
	;; [unrolled: 1-line block ×3, first 2 shown]
	v_add_f64_e64 v[30:31], v[133:134], -v[92:93]
	v_add_f64_e64 v[114:115], v[209:210], -v[74:75]
	v_add_f64_e64 v[74:75], v[149:150], -v[217:218]
	v_add_f64_e32 v[104:105], v[138:139], v[159:160]
	v_add_f64_e32 v[149:150], v[183:184], v[165:166]
	v_fma_f64 v[28:29], v[48:49], v[56:57], -v[50:51]
	v_mul_f64_e32 v[48:49], v[121:122], v[38:39]
	v_mul_f64_e32 v[50:51], v[42:43], v[54:55]
	v_fma_f64 v[56:57], v[16:17], v[76:77], v[86:87]
	scratch_load_b32 v86, off, off offset:312 th:TH_LOAD_LU ; 4-byte Folded Reload
	v_mul_f64_e32 v[16:17], v[102:103], v[42:43]
	v_mul_f64_e32 v[42:43], v[4:5], v[62:63]
	v_fma_f64 v[24:25], v[82:83], v[34:35], -v[84:85]
	v_mul_i32_i24_e32 v62, 0xffffffd0, v231
	v_mul_lo_u32 v63, s27, v198
	v_fma_f64 v[4:5], v[4:5], v[60:61], v[46:47]
	v_fma_f64 v[78:79], v[229:230], v[82:83], v[78:79]
	v_add_f64_e32 v[34:35], v[127:128], v[191:192]
	v_add_f64_e64 v[82:83], v[141:142], -v[90:91]
	v_add_f64_e32 v[90:91], v[141:142], v[90:91]
	v_add_f64_e32 v[140:141], v[201:202], v[163:164]
	;; [unrolled: 1-line block ×3, first 2 shown]
	v_add_f64_e64 v[76:77], v[221:222], -v[161:162]
	v_fma_f64 v[48:49], v[10:11], v[119:120], v[48:49]
	v_mul_f64_e32 v[10:11], v[10:11], v[121:122]
	v_fma_f64 v[50:51], v[102:103], v[40:41], v[50:51]
	v_add_f64_e64 v[102:103], v[12:13], -v[207:208]
	v_add_f64_e64 v[12:13], v[145:146], -v[193:194]
	v_fma_f64 v[0:1], v[60:61], v[0:1], -v[42:43]
	v_fma_f64 v[16:17], v[40:41], v[54:55], -v[16:17]
	v_add_f64_e32 v[40:41], v[133:134], v[92:93]
	v_add_f64_e64 v[54:55], v[219:220], -v[125:126]
	v_add_f64_e64 v[60:61], v[127:128], -v[191:192]
	v_add_f64_e32 v[92:93], v[131:132], v[151:152]
	v_add_f64_e32 v[42:43], v[145:146], v[193:194]
	v_add_f64_e64 v[122:123], v[143:144], -v[123:124]
	v_add_f64_e32 v[134:135], v[147:148], v[167:168]
	v_add_f64_e32 v[142:143], v[153:154], v[181:182]
	;; [unrolled: 3-line block ×4, first 2 shown]
	v_add_f64_e32 v[209:210], v[4:5], v[78:79]
	v_fma_f64 v[10:11], v[119:120], v[38:39], -v[10:11]
	v_add_f64_e32 v[120:121], v[211:212], v[36:37]
	v_add_f64_e32 v[38:39], v[108:109], v[129:130]
	;; [unrolled: 1-line block ×3, first 2 shown]
	v_add_f64_e64 v[217:218], v[0:1], -v[24:25]
	v_add_f64_e64 v[173:174], v[173:174], -v[32:33]
	v_add_f64_e32 v[32:33], v[171:172], v[215:216]
	v_add_f64_e64 v[171:172], v[6:7], -v[225:226]
	v_add_f64_e64 v[227:228], v[142:143], -v[149:150]
	;; [unrolled: 1-line block ×4, first 2 shown]
	s_wait_loadcnt 0x0
	v_add_nc_u32_e32 v88, v86, v62
	v_mul_lo_u32 v62, s26, v199
	v_add_f64_e32 v[198:199], v[205:206], v[8:9]
	ds_load_b64 v[46:47], v88
	v_add_f64_e64 v[88:89], v[205:206], -v[8:9]
	v_add_f64_e64 v[205:206], v[211:212], -v[36:37]
	v_add_f64_e32 v[36:37], v[219:220], v[125:126]
	v_add_f64_e64 v[126:127], v[131:132], -v[151:152]
	v_add_f64_e64 v[151:152], v[201:202], -v[163:164]
	v_add_f64_e32 v[201:202], v[0:1], v[24:25]
	v_add_f64_e64 v[0:1], v[12:13], -v[30:31]
	v_add_f64_e64 v[8:9], v[108:109], -v[129:130]
	v_add_f64_e64 v[124:125], v[138:139], -v[159:160]
	v_add_f64_e64 v[128:129], v[153:154], -v[181:182]
	v_add_f64_e32 v[138:139], v[169:170], v[155:156]
	v_add_f64_e64 v[153:154], v[169:170], -v[155:156]
	v_add_f64_e64 v[155:156], v[203:204], -v[185:186]
	v_add_f64_e32 v[203:204], v[16:17], v[10:11]
	v_add_f64_e32 v[16:17], v[38:39], v[40:41]
	;; [unrolled: 1-line block ×3, first 2 shown]
	v_add_f64_e64 v[130:131], v[183:184], -v[165:166]
	v_add_f64_e64 v[132:133], v[213:214], -v[157:158]
	v_add_f64_e64 v[157:158], v[98:99], -v[96:97]
	v_add_f64_e64 v[159:160], v[177:178], -v[223:224]
	v_add_f64_e32 v[161:162], v[68:69], v[175:176]
	v_add_f64_e32 v[163:164], v[179:180], v[58:59]
	;; [unrolled: 1-line block ×5, first 2 shown]
	v_add_f64_e64 v[68:69], v[68:69], -v[175:176]
	v_add_f64_e64 v[64:65], v[80:81], -v[64:65]
	;; [unrolled: 1-line block ×5, first 2 shown]
	v_add_f64_e32 v[175:176], v[66:67], v[26:27]
	v_add_f64_e32 v[177:178], v[2:3], v[94:95]
	v_add_f64_e32 v[179:180], v[28:29], v[110:111]
	v_add_f64_e32 v[181:182], v[70:71], v[22:23]
	v_add_f64_e32 v[183:184], v[6:7], v[225:226]
	v_add_f64_e32 v[6:7], v[18:19], v[72:73]
	v_add_f64_e64 v[185:186], v[66:67], -v[26:27]
	v_add_f64_e64 v[18:19], v[28:29], -v[110:111]
	;; [unrolled: 1-line block ×5, first 2 shown]
	v_add_f64_e32 v[211:212], v[50:51], v[48:49]
	v_add_f64_e64 v[213:214], v[14:15], -v[20:21]
	v_add_f64_e32 v[2:3], v[12:13], v[30:31]
	v_mul_f64_e32 v[235:236], s[22:23], v[0:1]
	scratch_load_b64 v[0:1], off, off offset:360 th:TH_LOAD_LU ; 8-byte Folded Reload
	v_add_f64_e64 v[4:5], v[8:9], -v[12:13]
	v_add_f64_e32 v[10:11], v[32:33], v[34:35]
	v_add_f64_e64 v[12:13], v[32:33], -v[36:37]
	v_add_f64_e64 v[14:15], v[36:37], -v[34:35]
	;; [unrolled: 1-line block ×4, first 2 shown]
	v_add_f64_e32 v[16:17], v[42:43], v[16:17]
	v_add_f64_e64 v[26:27], v[44:45], -v[54:55]
	v_add_f64_e64 v[28:29], v[54:55], -v[60:61]
	v_add_f64_e32 v[48:49], v[54:55], v[60:61]
	v_add_f64_e64 v[30:31], v[30:31], -v[8:9]
	v_add_f64_e64 v[32:33], v[34:35], -v[32:33]
	;; [unrolled: 1-line block ×6, first 2 shown]
	v_add_f64_e32 v[52:53], v[76:77], v[82:83]
	v_add_f64_e32 v[54:55], v[84:85], v[92:93]
	v_add_f64_e64 v[56:57], v[84:85], -v[104:105]
	v_add_f64_e64 v[60:61], v[104:105], -v[92:93]
	v_add_f64_e32 v[66:67], v[106:107], v[90:91]
	v_add_f64_e64 v[70:71], v[106:107], -v[108:109]
	v_add_f64_e64 v[72:73], v[108:109], -v[90:91]
	;; [unrolled: 1-line block ×4, first 2 shown]
	v_add_f64_e32 v[124:125], v[124:125], v[126:127]
	v_add_f64_e64 v[84:85], v[92:93], -v[84:85]
	v_add_f64_e64 v[90:91], v[90:91], -v[106:107]
	;; [unrolled: 1-line block ×5, first 2 shown]
	v_add_f64_e32 v[130:131], v[130:131], v[132:133]
	v_add_f64_e64 v[82:83], v[82:83], -v[74:75]
	v_add_f64_e32 v[225:226], v[142:143], v[144:145]
	v_add_f64_e64 v[231:232], v[146:147], -v[151:152]
	v_add_f64_e64 v[233:234], v[151:152], -v[153:154]
	v_add_f64_e32 v[151:152], v[151:152], v[153:154]
	v_add_f64_e64 v[132:133], v[132:133], -v[128:129]
	;; [unrolled: 3-line block ×3, first 2 shown]
	v_add_f64_e64 v[223:224], v[140:141], -v[138:139]
	v_add_f64_e64 v[134:135], v[138:139], -v[134:135]
	v_add_f64_e64 v[138:139], v[144:145], -v[142:143]
	v_add_f64_e64 v[142:143], v[153:154], -v[146:147]
	v_add_f64_e64 v[144:145], v[155:156], -v[157:158]
	v_mul_f64_e32 v[28:29], s[22:23], v[28:29]
	v_add_f64_e32 v[44:45], v[44:45], v[48:49]
	v_add_f64_e32 v[48:49], v[64:65], v[58:59]
	v_add_f64_e64 v[153:154], v[157:158], -v[159:160]
	v_add_f64_e32 v[157:158], v[157:158], v[159:160]
	v_add_f64_e64 v[159:160], v[159:160], -v[155:156]
	v_add3_u32 v137, v137, v62, v63
	scratch_load_b32 v62, off, off offset:16 th:TH_LOAD_LU ; 4-byte Folded Reload
	v_add_f64_e32 v[52:53], v[74:75], v[52:53]
	v_add_f64_e32 v[74:75], v[175:176], v[177:178]
	v_mul_f64_e32 v[14:15], s[24:25], v[14:15]
	v_mul_f64_e32 v[60:61], s[24:25], v[60:61]
	v_add_f64_e32 v[66:67], v[108:109], v[66:67]
	v_mul_f64_e32 v[108:109], s[18:19], v[12:13]
	v_add_f64_e32 v[8:9], v[8:9], v[2:3]
	v_add_f64_e32 v[2:3], v[161:162], v[163:164]
	;; [unrolled: 1-line block ×4, first 2 shown]
	v_add_f64_e64 v[124:125], v[68:69], -v[64:65]
	v_add_f64_e64 v[64:65], v[64:65], -v[58:59]
	v_mul_f64_e32 v[58:59], s[2:3], v[38:39]
	v_add_f64_e64 v[36:37], v[161:162], -v[165:166]
	v_add_f64_e32 v[42:43], v[167:168], v[169:170]
	v_add_f64_e32 v[128:129], v[128:129], v[130:131]
	v_mul_f64_e32 v[130:131], s[2:3], v[30:31]
	v_add_f64_e32 v[148:149], v[149:150], v[225:226]
	v_add_f64_e32 v[54:55], v[104:105], v[54:55]
	v_mul_f64_e32 v[24:25], s[24:25], v[24:25]
	v_add_f64_e32 v[146:147], v[146:147], v[151:152]
	v_add_f64_e64 v[150:151], v[175:176], -v[179:180]
	v_add_f64_e64 v[175:176], v[177:178], -v[175:176]
	;; [unrolled: 1-line block ×3, first 2 shown]
	v_add_f64_e32 v[140:141], v[140:141], v[219:220]
	v_mul_f64_e32 v[219:220], s[18:19], v[20:21]
	v_mul_f64_e32 v[50:51], s[22:23], v[50:51]
	;; [unrolled: 1-line block ×4, first 2 shown]
	v_add_f64_e64 v[161:162], v[163:164], -v[161:162]
	v_fma_f64 v[38:39], v[38:39], s[2:3], -v[28:29]
	v_add_f64_e64 v[163:164], v[165:166], -v[163:164]
	v_add_f64_e32 v[239:240], v[68:69], v[48:49]
	v_mul_f64_e32 v[68:69], s[22:23], v[126:127]
	v_add_f64_e32 v[155:156], v[155:156], v[157:158]
	v_mul_f64_e32 v[157:158], s[18:19], v[56:57]
	v_mul_f64_e32 v[48:49], s[2:3], v[92:93]
	v_add_f64_e64 v[104:105], v[167:168], -v[96:97]
	v_add_f64_e64 v[167:168], v[169:170], -v[167:168]
	v_add_f64_e32 v[126:127], v[179:180], v[74:75]
	v_mul_f64_e32 v[179:180], s[24:25], v[229:230]
	v_fma_f64 v[229:230], v[30:31], s[2:3], -v[235:236]
	v_fma_f64 v[241:242], v[56:57], s[18:19], v[60:61]
	v_fma_f64 v[60:61], v[84:85], s[4:5], -v[60:61]
	v_fma_f64 v[12:13], v[12:13], s[18:19], v[14:15]
	v_fma_f64 v[108:109], v[32:33], s[14:15], -v[108:109]
	v_fma_f64 v[14:15], v[32:33], s[4:5], -v[14:15]
	v_mul_f64_e32 v[32:33], s[18:19], v[227:228]
	v_mul_f64_e32 v[74:75], s[24:25], v[223:224]
	;; [unrolled: 1-line block ×4, first 2 shown]
	v_add_f64_e64 v[169:170], v[96:97], -v[169:170]
	v_add_f64_e32 v[165:166], v[165:166], v[2:3]
	v_add_f64_e32 v[42:43], v[96:97], v[42:43]
	v_fma_f64 v[130:131], v[4:5], s[12:13], -v[130:131]
	v_fma_f64 v[4:5], v[4:5], s[10:11], v[235:236]
	v_fma_f64 v[235:236], v[26:27], s[12:13], -v[58:59]
	v_fma_f64 v[26:27], v[26:27], s[10:11], v[28:29]
	v_mul_f64_e32 v[96:97], s[18:19], v[70:71]
	v_mul_f64_e32 v[72:73], s[24:25], v[72:73]
	s_wait_dscnt 0x0
	v_add_f64_e32 v[249:250], v[46:47], v[10:11]
	v_mul_f64_e32 v[46:47], s[18:19], v[221:222]
	v_fma_f64 v[20:21], v[20:21], s[18:19], v[24:25]
	v_fma_f64 v[219:220], v[34:35], s[14:15], -v[219:220]
	v_fma_f64 v[24:25], v[34:35], s[4:5], -v[24:25]
	v_mul_f64_e32 v[34:35], s[2:3], v[142:143]
	v_mul_f64_e32 v[243:244], s[18:19], v[36:37]
	v_fma_f64 v[225:226], v[40:41], s[12:13], -v[225:226]
	v_fma_f64 v[40:41], v[40:41], s[10:11], v[50:51]
	v_fma_f64 v[50:51], v[82:83], s[2:3], -v[50:51]
	v_mul_f64_e32 v[82:83], s[2:3], v[159:160]
	v_fma_f64 v[245:246], v[106:107], s[10:11], v[68:69]
	v_fma_f64 v[68:69], v[132:133], s[2:3], -v[68:69]
	v_fma_f64 v[157:158], v[84:85], s[14:15], -v[157:158]
	v_mul_f64_e32 v[152:153], s[22:23], v[153:154]
	v_fma_f64 v[48:49], v[76:77], s[12:13], -v[48:49]
	v_fma_f64 v[76:77], v[76:77], s[10:11], v[78:79]
	v_fma_f64 v[78:79], v[92:93], s[2:3], -v[78:79]
	v_fma_f64 v[132:133], v[227:228], s[18:19], v[179:180]
	v_mul_f64_e32 v[92:93], s[2:3], v[237:238]
	v_mul_f64_e32 v[64:65], s[22:23], v[64:65]
	v_mul_f64_e32 v[163:164], s[24:25], v[163:164]
	v_add_f64_e64 v[251:252], v[181:182], -v[6:7]
	v_add_f64_e64 v[253:254], v[22:23], -v[185:186]
	v_fma_f64 v[38:39], v[44:45], s[0:1], v[38:39]
	v_fma_f64 v[32:33], v[138:139], s[14:15], -v[32:33]
	v_fma_f64 v[138:139], v[138:139], s[4:5], -v[179:180]
	v_fma_f64 v[221:222], v[221:222], s[18:19], v[74:75]
	v_fma_f64 v[74:75], v[134:135], s[4:5], -v[74:75]
	v_mul_f64_e32 v[169:170], s[24:25], v[169:170]
	v_fma_f64 v[233:234], v[106:107], s[12:13], -v[233:234]
	v_add_f64_e64 v[106:107], v[80:81], -v[171:172]
	v_fma_f64 v[227:228], v[231:232], s[10:11], v[223:224]
	v_fma_f64 v[142:143], v[142:143], s[2:3], -v[223:224]
	v_add_f64_e32 v[223:224], v[187:188], v[189:190]
	v_fma_f64 v[96:97], v[90:91], s[14:15], -v[96:97]
	v_fma_f64 v[70:71], v[70:71], s[18:19], v[72:73]
	v_fma_f64 v[72:73], v[90:91], s[4:5], -v[72:73]
	v_mul_f64_e32 v[90:91], s[18:19], v[104:105]
	v_fma_f64 v[46:47], v[134:135], s[14:15], -v[46:47]
	v_fma_f64 v[10:11], v[10:11], s[20:21], v[249:250]
	v_add_f64_e32 v[134:135], v[116:117], v[118:119]
	v_fma_f64 v[34:35], v[231:232], s[12:13], -v[34:35]
	v_fma_f64 v[231:232], v[161:162], s[14:15], -v[243:244]
	v_add_f64_e64 v[243:244], v[98:99], -v[80:81]
	v_fma_f64 v[2:3], v[52:53], s[0:1], v[50:51]
	v_fma_f64 v[82:83], v[144:145], s[12:13], -v[82:83]
	v_fma_f64 v[144:145], v[144:145], s[10:11], v[152:153]
	v_fma_f64 v[152:153], v[159:160], s[2:3], -v[152:153]
	v_add_f64_e32 v[159:160], v[80:81], v[171:172]
	v_fma_f64 v[48:49], v[122:123], s[0:1], v[48:49]
	v_add_f64_e64 v[171:172], v[171:172], -v[98:99]
	v_fma_f64 v[92:93], v[124:125], s[12:13], -v[92:93]
	v_fma_f64 v[80:81], v[124:125], s[10:11], v[64:65]
	v_fma_f64 v[124:125], v[237:238], s[2:3], -v[64:65]
	v_fma_f64 v[64:65], v[8:9], s[0:1], v[4:5]
	v_fma_f64 v[36:37], v[36:37], s[18:19], v[163:164]
	v_fma_f64 v[161:162], v[161:162], s[4:5], -v[163:164]
	v_add_f64_e64 v[163:164], v[6:7], -v[183:184]
	v_add_f64_e32 v[237:238], v[18:19], v[22:23]
	v_add_f64_e32 v[108:109], v[108:109], v[10:11]
	;; [unrolled: 1-line block ×3, first 2 shown]
	s_delay_alu instid0(VALU_DEP_4)
	v_mul_f64_e32 v[163:164], s[24:25], v[163:164]
	s_wait_loadcnt 0x1
	v_add_f64_e32 v[247:248], v[0:1], v[16:17]
	scratch_load_b64 v[0:1], off, off offset:352 th:TH_LOAD_LU ; 8-byte Folded Reload
	v_fma_f64 v[16:17], v[16:17], s[20:21], v[247:248]
	scratch_store_b128 off, v[247:250], off offset:36 ; 16-byte Folded Spill
	s_wait_loadcnt 0x0
	v_add_f64_e32 v[28:29], v[0:1], v[66:67]
	scratch_load_b32 v0, off, off offset:128 th:TH_LOAD_LU ; 4-byte Folded Reload
	v_fma_f64 v[66:67], v[66:67], s[20:21], v[28:29]
	s_delay_alu instid0(VALU_DEP_1)
	v_add_f64_e32 v[70:71], v[70:71], v[66:67]
	v_add_f64_e32 v[96:97], v[96:97], v[66:67]
	s_wait_loadcnt 0x0
	ds_load_b64 v[84:85], v0
	scratch_load_b64 v[0:1], off, off offset:344 th:TH_LOAD_LU ; 8-byte Folded Reload
	s_wait_loadcnt 0x0
	v_add_f64_e32 v[56:57], v[0:1], v[148:149]
	s_clause 0x1
	scratch_load_b32 v0, off, off offset:32 th:TH_LOAD_LU
	scratch_load_b32 v86, off, off th:TH_LOAD_LU
	ds_load_b64 v[62:63], v62
	s_wait_loadcnt 0x0
	ds_load_b64 v[86:87], v86
	ds_load_b64 v[179:180], v0
	scratch_load_b64 v[0:1], off, off offset:336 th:TH_LOAD_LU ; 8-byte Folded Reload
	s_wait_dscnt 0x2
	v_add_f64_e32 v[30:31], v[62:63], v[54:55]
	v_add_f64_e32 v[62:63], v[181:182], v[183:184]
	s_wait_dscnt 0x1
	v_add_f64_e32 v[58:59], v[86:87], v[140:141]
	v_add_f64_e32 v[86:87], v[84:85], v[165:166]
	s_delay_alu instid0(VALU_DEP_4) | instskip(NEXT) | instid1(VALU_DEP_4)
	v_fma_f64 v[54:55], v[54:55], s[20:21], v[30:31]
	v_add_f64_e32 v[247:248], v[6:7], v[62:63]
	v_fma_f64 v[6:7], v[104:105], s[18:19], v[169:170]
	v_fma_f64 v[62:63], v[167:168], s[14:15], -v[90:91]
	v_fma_f64 v[90:91], v[167:168], s[4:5], -v[169:170]
	v_add_f64_e64 v[167:168], v[185:186], -v[18:19]
	v_add_f64_e64 v[169:170], v[18:19], -v[22:23]
	v_fma_f64 v[22:23], v[8:9], s[0:1], v[130:131]
	v_fma_f64 v[18:19], v[8:9], s[0:1], v[229:230]
	v_fma_f64 v[229:230], v[44:45], s[0:1], v[26:27]
	v_fma_f64 v[8:9], v[148:149], s[20:21], v[56:57]
	v_fma_f64 v[26:27], v[44:45], s[0:1], v[235:236]
	v_mul_f64_e32 v[148:149], s[22:23], v[106:107]
	v_add_f64_e32 v[44:45], v[12:13], v[10:11]
	s_wait_dscnt 0x0
	v_add_f64_e32 v[106:107], v[179:180], v[126:127]
	v_fma_f64 v[179:180], v[146:147], s[0:1], v[227:228]
	v_add_f64_e32 v[130:131], v[193:194], v[201:202]
	v_fma_f64 v[4:5], v[140:141], s[20:21], v[58:59]
	v_add_f64_e32 v[140:141], v[207:208], v[209:210]
	v_add_f64_e32 v[235:236], v[14:15], v[10:11]
	v_fma_f64 v[165:166], v[165:166], s[20:21], v[86:87]
	v_mul_f64_e32 v[14:15], s[24:25], v[177:178]
	v_mul_f64_e32 v[177:178], s[2:3], v[171:172]
	;; [unrolled: 1-line block ×3, first 2 shown]
	v_add_f64_e32 v[132:133], v[132:133], v[8:9]
	v_fma_f64 v[126:127], v[126:127], s[20:21], v[106:107]
	v_add_f64_e32 v[74:75], v[74:75], v[4:5]
	v_add_f64_e32 v[227:228], v[18:19], v[235:236]
	;; [unrolled: 1-line block ×3, first 2 shown]
	v_fma_f64 v[150:151], v[150:151], s[18:19], v[14:15]
	v_fma_f64 v[14:15], v[175:176], s[4:5], -v[14:15]
	v_fma_f64 v[177:178], v[243:244], s[12:13], -v[177:178]
	s_delay_alu instid0(VALU_DEP_3) | instskip(NEXT) | instid1(VALU_DEP_3)
	v_add_f64_e32 v[150:151], v[150:151], v[126:127]
	v_add_f64_e32 v[14:15], v[14:15], v[126:127]
	s_wait_loadcnt 0x0
	v_add_f64_e32 v[84:85], v[0:1], v[42:43]
	v_fma_f64 v[0:1], v[52:53], s[0:1], v[225:226]
	s_delay_alu instid0(VALU_DEP_2)
	v_fma_f64 v[12:13], v[42:43], s[20:21], v[84:85]
	v_add_f64_e32 v[42:43], v[20:21], v[16:17]
	v_add_f64_e32 v[20:21], v[219:220], v[16:17]
	v_fma_f64 v[219:220], v[52:53], s[0:1], v[40:41]
	v_fma_f64 v[52:53], v[122:123], s[0:1], v[76:77]
	;; [unrolled: 1-line block ×3, first 2 shown]
	v_add_f64_e32 v[78:79], v[241:242], v[54:55]
	v_add_f64_e32 v[122:123], v[157:158], v[54:55]
	;; [unrolled: 1-line block ×4, first 2 shown]
	v_fma_f64 v[157:158], v[128:129], s[0:1], v[245:246]
	v_fma_f64 v[241:242], v[128:129], s[0:1], v[233:234]
	;; [unrolled: 1-line block ×5, first 2 shown]
	v_add_f64_e32 v[142:143], v[221:222], v[4:5]
	v_add_f64_e32 v[146:147], v[46:47], v[4:5]
	scratch_load_b64 v[4:5], off, off offset:328 th:TH_LOAD_LU ; 8-byte Folded Reload
	v_add_f64_e32 v[221:222], v[32:33], v[8:9]
	v_add_f64_e32 v[34:35], v[64:65], v[44:45]
	;; [unrolled: 1-line block ×4, first 2 shown]
	scratch_load_b32 v24, off, off offset:124 th:TH_LOAD_LU ; 4-byte Folded Reload
	v_add_f64_e64 v[233:234], v[235:236], -v[18:19]
	v_add_f64_e64 v[18:19], v[44:45], -v[64:65]
	v_add_f64_e32 v[138:139], v[62:63], v[12:13]
	v_add_f64_e64 v[32:33], v[42:43], -v[229:230]
	v_add_f64_e32 v[6:7], v[6:7], v[12:13]
	v_add_f64_e32 v[12:13], v[90:91], v[12:13]
	v_add_f64_e64 v[90:91], v[110:111], -v[191:192]
	v_add_f64_e32 v[46:47], v[2:3], v[54:55]
	v_add_f64_e32 v[40:41], v[76:77], v[60:61]
	v_add_f64_e64 v[44:45], v[60:61], -v[76:77]
	v_add_f64_e64 v[60:61], v[132:133], -v[179:180]
	v_add_f64_e32 v[62:63], v[157:158], v[142:143]
	v_add_f64_e32 v[66:67], v[241:242], v[146:147]
	v_add_f64_e64 v[64:65], v[221:222], -v[245:246]
	v_add_f64_e32 v[76:77], v[245:246], v[221:222]
	v_add_f64_e32 v[68:69], v[128:129], v[8:9]
	;; [unrolled: 1-line block ×3, first 2 shown]
	v_add_f64_e64 v[225:226], v[16:17], -v[38:39]
	v_add_f64_e32 v[16:17], v[229:230], v[42:43]
	v_add_f64_e64 v[42:43], v[54:55], -v[2:3]
	v_add_f64_e64 v[54:55], v[78:79], -v[219:220]
	v_add_f64_e32 v[38:39], v[0:1], v[122:123]
	v_add_f64_e64 v[2:3], v[122:123], -v[0:1]
	v_add_f64_e64 v[221:222], v[142:143], -v[157:158]
	v_fma_f64 v[122:123], v[243:244], s[10:11], v[148:149]
	v_fma_f64 v[148:149], v[171:172], s[2:3], -v[148:149]
	v_add_f64_e64 v[171:172], v[102:103], -v[88:89]
	v_add_f64_e32 v[0:1], v[48:49], v[96:97]
	v_mul_f64_e32 v[142:143], s[18:19], v[251:252]
	scratch_store_b128 off, v[32:35], off   ; 16-byte Folded Spill
	v_add_f64_e32 v[34:35], v[22:23], v[108:109]
	v_add_f64_e64 v[32:33], v[20:21], -v[26:27]
	v_add_f64_e64 v[22:23], v[108:109], -v[22:23]
	v_add_f64_e32 v[20:21], v[26:27], v[20:21]
	v_add_f64_e64 v[26:27], v[112:113], -v[100:101]
	v_fma_f64 v[108:109], v[155:156], s[0:1], v[152:153]
	v_fma_f64 v[112:113], v[239:240], s[0:1], v[124:125]
	v_add_f64_e32 v[124:125], v[203:204], v[130:131]
	v_add_f64_e32 v[130:131], v[211:212], v[140:141]
	v_add_f64_e64 v[152:153], v[207:208], -v[211:212]
	v_add_f64_e32 v[140:141], v[98:99], v[159:160]
	v_add_f64_e64 v[158:159], v[88:89], -v[114:115]
	;; [unrolled: 2-line block ×3, first 2 shown]
	v_fma_f64 v[160:161], v[251:252], s[18:19], v[163:164]
	v_add_f64_e64 v[207:208], v[209:210], -v[207:208]
	scratch_store_b128 off, v[32:35], off offset:16 ; 16-byte Folded Spill
	v_add_f64_e64 v[32:33], v[70:71], -v[52:53]
	v_add_f64_e32 v[52:53], v[52:53], v[70:71]
	v_add_f64_e64 v[70:71], v[74:75], -v[72:73]
	v_add_f64_e32 v[74:75], v[72:73], v[74:75]
	v_add_f64_e64 v[72:73], v[8:9], -v[128:129]
	v_mul_f64_e32 v[8:9], s[2:3], v[253:254]
	v_add_f64_e32 v[34:35], v[219:220], v[78:79]
	v_add_f64_e32 v[219:220], v[179:180], v[132:133]
	v_add_f64_e64 v[132:133], v[211:212], -v[209:210]
	v_add_f64_e64 v[128:129], v[191:192], -v[94:95]
	v_add_f64_e64 v[78:79], v[146:147], -v[241:242]
	v_add_f64_e64 v[146:147], v[217:218], -v[213:214]
	v_add_f64_e64 v[179:180], v[198:199], -v[189:190]
	v_add_f64_e32 v[217:218], v[215:216], v[217:218]
	v_add_f64_e64 v[215:216], v[213:214], -v[215:216]
	v_mul_f64_e32 v[235:236], s[22:23], v[98:99]
	v_mul_f64_e32 v[158:159], s[22:23], v[158:159]
	;; [unrolled: 1-line block ×3, first 2 shown]
	v_fma_f64 v[177:178], v[140:141], s[0:1], v[177:178]
	v_fma_f64 v[211:212], v[167:168], s[12:13], -v[8:9]
	v_lshl_add_u32 v8, v200, 3, 0
	v_mul_f64_e32 v[132:133], s[24:25], v[132:133]
	ds_load_b64 v[229:230], v8
	scratch_load_b64 v[8:9], off, off offset:320 th:TH_LOAD_LU ; 8-byte Folded Reload
	v_mul_f64_e32 v[98:99], s[2:3], v[146:147]
	v_mul_f64_e32 v[179:180], s[24:25], v[179:180]
	v_add_f64_e32 v[213:214], v[213:214], v[217:218]
	v_fma_f64 v[209:210], v[207:208], s[14:15], -v[209:210]
	v_fma_f64 v[152:153], v[152:153], s[18:19], v[132:133]
	v_fma_f64 v[132:133], v[207:208], s[4:5], -v[132:133]
	v_fma_f64 v[217:218], v[215:216], s[12:13], -v[98:99]
	v_fma_f64 v[215:216], v[215:216], s[10:11], v[235:236]
	v_add_f64_e64 v[98:99], v[100:101], -v[108:109]
	s_wait_loadcnt 0x2
	v_add_f64_e32 v[104:105], v[4:5], v[247:248]
	v_fma_f64 v[4:5], v[155:156], s[0:1], v[144:145]
	v_add_f64_e64 v[144:145], v[183:184], -v[181:182]
	v_add_f64_e32 v[181:182], v[185:186], v[237:238]
	v_add_f64_e64 v[185:186], v[114:115], -v[102:103]
	v_add_f64_e32 v[114:115], v[88:89], v[114:115]
	scratch_load_b64 v[88:89], off, off offset:304 th:TH_LOAD_LU ; 8-byte Folded Reload
	s_wait_loadcnt 0x2
	ds_load_b64 v[50:51], v24
	v_fma_f64 v[24:25], v[239:240], s[0:1], v[80:81]
	v_fma_f64 v[80:81], v[155:156], s[0:1], v[82:83]
	v_add_f64_e32 v[82:83], v[36:37], v[165:166]
	v_add_f64_e64 v[36:37], v[96:97], -v[48:49]
	v_add_f64_e64 v[96:97], v[203:204], -v[201:202]
	v_mul_f64_e32 v[154:155], s[22:23], v[169:170]
	v_add_f64_e64 v[165:166], v[116:117], -v[120:121]
	v_add_f64_e64 v[120:121], v[120:121], -v[118:119]
	v_add_f64_e32 v[169:170], v[198:199], v[223:224]
	v_add_f64_e64 v[183:184], v[205:206], -v[173:174]
	v_add_f64_e64 v[223:224], v[173:174], -v[26:27]
	v_fma_f64 v[48:49], v[239:240], s[0:1], v[92:93]
	v_add_f64_e64 v[92:93], v[193:194], -v[203:204]
	v_fma_f64 v[203:204], v[175:176], s[14:15], -v[10:11]
	v_add_f64_e64 v[198:199], v[187:188], -v[198:199]
	v_add_f64_e32 v[175:176], v[110:111], v[191:192]
	v_add_f64_e64 v[193:194], v[201:202], -v[193:194]
	v_add_f64_e64 v[110:111], v[94:95], -v[110:111]
	v_mul_f64_e32 v[201:202], s[22:23], v[90:91]
	s_wait_dscnt 0x0
	v_add_f64_e32 v[10:11], v[50:51], v[124:125]
	v_mul_f64_e32 v[50:51], s[2:3], v[128:129]
	v_add_f64_e64 v[239:240], v[26:27], -v[205:206]
	v_add_f64_e32 v[173:174], v[205:206], v[173:174]
	v_add_f64_e64 v[116:117], v[118:119], -v[116:117]
	v_add_f64_e64 v[187:188], v[189:190], -v[187:188]
	v_fma_f64 v[156:157], v[247:248], s[20:21], v[104:105]
	v_fma_f64 v[237:238], v[144:145], s[14:15], -v[142:143]
	v_fma_f64 v[162:163], v[144:145], s[4:5], -v[163:164]
	v_add_f64_e32 v[144:145], v[229:230], v[134:135]
	v_mul_f64_e32 v[205:206], s[2:3], v[185:186]
	v_add_f64_e32 v[207:208], v[102:103], v[114:115]
	v_add_f64_e32 v[102:103], v[108:109], v[100:101]
	v_add_f64_e64 v[100:101], v[12:13], -v[112:113]
	v_add_f64_e32 v[90:91], v[4:5], v[82:83]
	v_add_f64_e64 v[114:115], v[82:83], -v[4:5]
	v_mul_f64_e32 v[96:97], s[24:25], v[96:97]
	v_fma_f64 v[167:168], v[167:168], s[10:11], v[154:155]
	v_mul_f64_e32 v[229:230], s[18:19], v[165:166]
	v_mul_f64_e32 v[120:121], s[24:25], v[120:121]
	v_fma_f64 v[154:155], v[253:254], s[2:3], -v[154:155]
	v_mul_f64_e32 v[183:184], s[22:23], v[183:184]
	v_mul_f64_e32 v[189:190], s[2:3], v[223:224]
	v_add_f64_e32 v[108:109], v[48:49], v[138:139]
	v_mul_f64_e32 v[191:192], s[18:19], v[92:93]
	v_mul_f64_e32 v[118:119], s[18:19], v[198:199]
	v_add_f64_e32 v[175:176], v[94:95], v[175:176]
	v_fma_f64 v[198:199], v[198:199], s[18:19], v[179:180]
	v_add_f64_e32 v[94:95], v[80:81], v[249:250]
	v_fma_f64 v[128:129], v[128:129], s[2:3], -v[201:202]
	v_fma_f64 v[124:125], v[124:125], s[20:21], v[10:11]
	v_fma_f64 v[50:51], v[110:111], s[12:13], -v[50:51]
	v_fma_f64 v[110:111], v[110:111], s[10:11], v[201:202]
	v_fma_f64 v[201:202], v[140:141], s[0:1], v[122:123]
	v_fma_f64 v[122:123], v[146:147], s[2:3], -v[235:236]
	v_fma_f64 v[146:147], v[171:172], s[10:11], v[158:159]
	v_add_f64_e32 v[26:27], v[26:27], v[173:174]
	v_fma_f64 v[140:141], v[140:141], s[0:1], v[148:149]
	v_add_f64_e32 v[160:161], v[160:161], v[156:157]
	v_add_f64_e32 v[148:149], v[162:163], v[156:157]
	v_fma_f64 v[134:135], v[134:135], s[20:21], v[144:145]
	v_fma_f64 v[171:172], v[171:172], s[12:13], -v[205:206]
	v_fma_f64 v[205:206], v[213:214], s[0:1], v[215:216]
	v_fma_f64 v[241:242], v[92:93], s[18:19], v[96:97]
	;; [unrolled: 1-line block ×3, first 2 shown]
	v_fma_f64 v[173:174], v[116:117], s[14:15], -v[229:230]
	v_fma_f64 v[164:165], v[165:166], s[18:19], v[120:121]
	v_fma_f64 v[116:117], v[116:117], s[4:5], -v[120:121]
	v_fma_f64 v[235:236], v[239:240], s[10:11], v[183:184]
	v_fma_f64 v[189:190], v[239:240], s[12:13], -v[189:190]
	v_fma_f64 v[120:121], v[185:186], s[2:3], -v[158:159]
	;; [unrolled: 1-line block ×7, first 2 shown]
	v_fma_f64 v[187:188], v[181:182], s[0:1], v[211:212]
	v_fma_f64 v[154:155], v[181:182], s[0:1], v[154:155]
	v_add_f64_e32 v[96:97], v[112:113], v[12:13]
	v_add_f64_e32 v[183:184], v[203:204], v[126:127]
	v_fma_f64 v[12:13], v[175:176], s[0:1], v[110:111]
	v_add_f64_e32 v[185:186], v[237:238], v[156:157]
	v_fma_f64 v[211:212], v[213:214], s[0:1], v[217:218]
	v_add_f64_e32 v[112:113], v[24:25], v[6:7]
	v_add_f64_e64 v[92:93], v[138:139], -v[48:49]
	v_fma_f64 v[50:51], v[175:176], s[0:1], v[50:51]
	v_fma_f64 v[175:176], v[175:176], s[0:1], v[128:129]
	;; [unrolled: 1-line block ×3, first 2 shown]
	v_add_f64_e64 v[126:127], v[14:15], -v[140:141]
	v_add_f64_e64 v[110:111], v[249:250], -v[80:81]
	v_fma_f64 v[213:214], v[213:214], s[0:1], v[122:123]
	v_fma_f64 v[138:139], v[207:208], s[0:1], v[171:172]
	v_add_f64_e32 v[181:182], v[241:242], v[124:125]
	v_add_f64_e32 v[146:147], v[167:168], v[160:161]
	;; [unrolled: 1-line block ×3, first 2 shown]
	v_fma_f64 v[82:83], v[26:27], s[0:1], v[235:236]
	v_fma_f64 v[217:218], v[26:27], s[0:1], v[189:190]
	v_add_f64_e32 v[189:190], v[116:117], v[134:135]
	v_fma_f64 v[207:208], v[207:208], s[0:1], v[120:121]
	v_fma_f64 v[26:27], v[26:27], s[0:1], v[179:180]
	v_add_f64_e32 v[191:192], v[191:192], v[124:125]
	v_add_f64_e32 v[162:163], v[193:194], v[124:125]
	v_add_f64_e64 v[116:117], v[160:161], -v[167:168]
	v_add_f64_e32 v[124:125], v[154:155], v[148:149]
	v_add_f64_e64 v[128:129], v[148:149], -v[154:155]
	;; [unrolled: 2-line block ×3, first 2 shown]
	v_add_f64_e64 v[120:121], v[185:186], -v[187:188]
	s_wait_loadcnt 0x1
	v_add_f64_e32 v[8:9], v[8:9], v[130:131]
	v_add_f64_e32 v[156:157], v[50:51], v[191:192]
	v_add_f64_e64 v[160:161], v[162:163], -v[175:176]
	v_add_f64_e32 v[164:165], v[175:176], v[162:163]
	s_delay_alu instid0(VALU_DEP_4) | instskip(NEXT) | instid1(VALU_DEP_1)
	v_fma_f64 v[130:131], v[130:131], s[20:21], v[8:9]
	v_add_f64_e32 v[203:204], v[152:153], v[130:131]
	v_add_f64_e32 v[209:210], v[209:210], v[130:131]
	;; [unrolled: 1-line block ×7, first 2 shown]
	v_add_f64_e64 v[162:163], v[193:194], -v[213:214]
	v_add_f64_e64 v[154:155], v[209:210], -v[211:212]
	s_wait_loadcnt 0x0
	v_add_f64_e32 v[142:143], v[88:89], v[169:170]
	v_add_f64_e64 v[88:89], v[6:7], -v[24:25]
	v_mul_hi_u32 v6, 0xbf112a8b, v200
	s_delay_alu instid0(VALU_DEP_1) | instskip(NEXT) | instid1(VALU_DEP_1)
	v_lshrrev_b32_e32 v6, 8, v6
	v_mul_u32_u24_e32 v6, 0x157, v6
	s_delay_alu instid0(VALU_DEP_1) | instskip(NEXT) | instid1(VALU_DEP_1)
	v_sub_nc_u32_e32 v140, v200, v6
	v_mad_co_u64_u32 v[6:7], null, s16, v140, 0
	v_fma_f64 v[169:170], v[169:170], s[20:21], v[142:143]
	s_delay_alu instid0(VALU_DEP_1)
	v_add_f64_e32 v[223:224], v[158:159], v[169:170]
	v_add_f64_e32 v[80:81], v[198:199], v[169:170]
	;; [unrolled: 1-line block ×3, first 2 shown]
	v_add_f64_e64 v[172:173], v[181:182], -v[12:13]
	v_mad_co_u64_u32 v[12:13], null, s17, v140, v[7:8]
	v_add_f64_e32 v[215:216], v[118:119], v[169:170]
	v_add_f64_e64 v[134:135], v[183:184], -v[177:178]
	v_add_nc_u32_e32 v24, 0x157, v140
	v_add_f64_e32 v[118:119], v[201:202], v[150:151]
	v_add_f64_e64 v[150:151], v[203:204], -v[205:206]
	v_add_f64_e32 v[170:171], v[205:206], v[203:204]
	v_mov_b32_e32 v7, v12
	v_mad_co_u64_u32 v[12:13], null, s16, v24, 0
	v_add_f64_e32 v[176:177], v[4:5], v[48:49]
	v_add_f64_e64 v[203:204], v[48:49], -v[4:5]
	v_lshlrev_b64_e32 v[4:5], 4, v[136:137]
	v_add_f64_e64 v[168:169], v[191:192], -v[50:51]
	v_lshlrev_b64_e32 v[6:7], 4, v[6:7]
	v_add_f64_e32 v[158:159], v[213:214], v[193:194]
	v_add_f64_e64 v[184:185], v[189:190], -v[207:208]
	v_add_f64_e32 v[188:189], v[207:208], v[189:190]
	v_add_co_u32 v48, vcc_lo, s6, v4
	s_wait_alu 0xfffd
	v_add_co_ci_u32_e32 v49, vcc_lo, s7, v5, vcc_lo
	v_lshlrev_b64_e32 v[4:5], 4, v[196:197]
	s_delay_alu instid0(VALU_DEP_1) | instskip(SKIP_2) | instid1(VALU_DEP_3)
	v_add_co_u32 v136, vcc_lo, v48, v4
	v_add_nc_u32_e32 v48, 0x55c, v140
	s_wait_alu 0xfffd
	v_add_co_ci_u32_e32 v137, vcc_lo, v49, v5, vcc_lo
	v_add_f64_e32 v[182:183], v[26:27], v[223:224]
	v_add_f64_e64 v[186:187], v[223:224], -v[26:27]
	v_add_nc_u32_e32 v26, 0x2ae, v140
	v_add_f64_e32 v[201:202], v[82:83], v[80:81]
	v_add_co_u32 v4, vcc_lo, v136, v6
	v_add_f64_e64 v[192:193], v[198:199], -v[138:139]
	s_delay_alu instid0(VALU_DEP_4)
	v_mad_co_u64_u32 v[14:15], null, s16, v26, 0
	v_add_f64_e32 v[190:191], v[217:218], v[215:216]
	s_wait_alu 0xfffd
	v_add_co_ci_u32_e32 v5, vcc_lo, v137, v7, vcc_lo
	v_add_f64_e64 v[174:175], v[80:81], -v[82:83]
	v_add_f64_e32 v[180:181], v[138:139], v[198:199]
	v_add_f64_e64 v[178:179], v[215:216], -v[217:218]
	v_mad_co_u64_u32 v[24:25], null, s17, v24, v[13:14]
	s_delay_alu instid0(VALU_DEP_1) | instskip(SKIP_2) | instid1(VALU_DEP_3)
	v_dual_mov_b32 v13, v24 :: v_dual_add_nc_u32 v82, 0x62, v200
	v_mad_co_u64_u32 v[25:26], null, s17, v26, v[15:16]
	v_add_nc_u32_e32 v50, 0x405, v140
	v_lshlrev_b64_e32 v[12:13], 4, v[12:13]
	s_delay_alu instid0(VALU_DEP_3) | instskip(NEXT) | instid1(VALU_DEP_3)
	v_mov_b32_e32 v15, v25
	v_mad_co_u64_u32 v[26:27], null, s16, v50, 0
	v_mad_co_u64_u32 v[24:25], null, s16, v48, 0
	s_delay_alu instid0(VALU_DEP_3) | instskip(SKIP_4) | instid1(VALU_DEP_4)
	v_lshlrev_b64_e32 v[14:15], 4, v[14:15]
	v_add_co_u32 v12, vcc_lo, v136, v12
	s_wait_alu 0xfffd
	v_add_co_ci_u32_e32 v13, vcc_lo, v137, v13, vcc_lo
	v_mov_b32_e32 v6, v27
	v_add_co_u32 v14, vcc_lo, v136, v14
	s_wait_alu 0xfffd
	v_add_co_ci_u32_e32 v15, vcc_lo, v137, v15, vcc_lo
	s_delay_alu instid0(VALU_DEP_3)
	v_mad_co_u64_u32 v[6:7], null, s17, v50, v[6:7]
	v_mov_b32_e32 v7, v25
	s_clause 0x2
	global_store_b128 v[4:5], v[142:145], off
	global_store_b128 v[12:13], v[201:204], off
	;; [unrolled: 1-line block ×3, first 2 shown]
	v_mov_b32_e32 v27, v6
	v_mad_co_u64_u32 v[6:7], null, s17, v48, v[7:8]
	v_add_nc_u32_e32 v50, 0x6b3, v140
	s_delay_alu instid0(VALU_DEP_3) | instskip(NEXT) | instid1(VALU_DEP_3)
	v_lshlrev_b64_e32 v[4:5], 4, v[26:27]
	v_mov_b32_e32 v25, v6
	s_delay_alu instid0(VALU_DEP_3) | instskip(SKIP_1) | instid1(VALU_DEP_4)
	v_mad_co_u64_u32 v[48:49], null, s16, v50, 0
	v_add_nc_u32_e32 v51, 49, v200
	v_add_co_u32 v4, vcc_lo, v136, v4
	s_wait_alu 0xfffd
	v_add_co_ci_u32_e32 v5, vcc_lo, v137, v5, vcc_lo
	s_delay_alu instid0(VALU_DEP_4) | instskip(SKIP_1) | instid1(VALU_DEP_1)
	v_mov_b32_e32 v6, v49
	v_mul_hi_u32 v7, 0xbf112a8b, v51
	v_lshrrev_b32_e32 v26, 8, v7
	s_delay_alu instid0(VALU_DEP_3) | instskip(NEXT) | instid1(VALU_DEP_2)
	v_mad_co_u64_u32 v[6:7], null, s17, v50, v[6:7]
	v_mul_u32_u24_e32 v14, 0x157, v26
	s_delay_alu instid0(VALU_DEP_2) | instskip(NEXT) | instid1(VALU_DEP_2)
	v_mov_b32_e32 v49, v6
	v_sub_nc_u32_e32 v27, v51, v14
	s_delay_alu instid0(VALU_DEP_1) | instskip(NEXT) | instid1(VALU_DEP_1)
	v_mad_u32_u24 v80, 0x961, v26, v27
	v_mad_co_u64_u32 v[26:27], null, s16, v80, 0
	v_add_nc_u32_e32 v15, 0x80a, v140
	v_add_nc_u32_e32 v51, 0x157, v80
	;; [unrolled: 1-line block ×3, first 2 shown]
	s_delay_alu instid0(VALU_DEP_3) | instskip(NEXT) | instid1(VALU_DEP_1)
	v_mad_co_u64_u32 v[12:13], null, s16, v15, 0
	v_mov_b32_e32 v7, v13
	v_lshlrev_b64_e32 v[13:14], 4, v[24:25]
	s_delay_alu instid0(VALU_DEP_2) | instskip(NEXT) | instid1(VALU_DEP_2)
	v_mad_co_u64_u32 v[6:7], null, s17, v15, v[7:8]
	v_add_co_u32 v24, vcc_lo, v136, v13
	s_wait_alu 0xfffd
	s_delay_alu instid0(VALU_DEP_3)
	v_add_co_ci_u32_e32 v25, vcc_lo, v137, v14, vcc_lo
	v_lshlrev_b64_e32 v[14:15], 4, v[48:49]
	v_mad_co_u64_u32 v[48:49], null, s16, v51, 0
	v_mov_b32_e32 v13, v6
	s_clause 0x1
	global_store_b128 v[4:5], v[186:189], off
	global_store_b128 v[24:25], v[182:185], off
	v_add_co_u32 v6, vcc_lo, v136, v14
	s_wait_alu 0xfffd
	v_add_co_ci_u32_e32 v7, vcc_lo, v137, v15, vcc_lo
	v_dual_mov_b32 v14, v27 :: v_dual_mov_b32 v15, v49
	v_lshlrev_b64_e32 v[12:13], 4, v[12:13]
	s_delay_alu instid0(VALU_DEP_2) | instskip(SKIP_2) | instid1(VALU_DEP_4)
	v_mad_co_u64_u32 v[49:50], null, s17, v80, v[14:15]
	v_mad_co_u64_u32 v[14:15], null, s17, v51, v[15:16]
	;; [unrolled: 1-line block ×3, first 2 shown]
	v_add_co_u32 v12, vcc_lo, v136, v12
	s_delay_alu instid0(VALU_DEP_4)
	v_mov_b32_e32 v27, v49
	s_wait_alu 0xfffd
	v_add_co_ci_u32_e32 v13, vcc_lo, v137, v13, vcc_lo
	s_clause 0x1
	global_store_b128 v[6:7], v[178:181], off
	global_store_b128 v[12:13], v[174:177], off
	v_lshlrev_b64_e32 v[5:6], 4, v[26:27]
	v_dual_mov_b32 v4, v51 :: v_dual_mov_b32 v49, v14
	v_add_nc_u32_e32 v15, 0x405, v80
	s_delay_alu instid0(VALU_DEP_2) | instskip(NEXT) | instid1(VALU_DEP_3)
	v_mad_co_u64_u32 v[12:13], null, s17, v81, v[4:5]
	v_lshlrev_b64_e32 v[13:14], 4, v[48:49]
	s_delay_alu instid0(VALU_DEP_3)
	v_mad_co_u64_u32 v[24:25], null, s16, v15, 0
	v_add_co_u32 v4, vcc_lo, v136, v5
	v_add_nc_u32_e32 v81, 0x55c, v80
	v_mov_b32_e32 v51, v12
	s_wait_alu 0xfffd
	v_add_co_ci_u32_e32 v5, vcc_lo, v137, v6, vcc_lo
	v_add_co_u32 v6, vcc_lo, v136, v13
	s_wait_alu 0xfffd
	v_add_co_ci_u32_e32 v7, vcc_lo, v137, v14, vcc_lo
	v_lshlrev_b64_e32 v[13:14], 4, v[50:51]
	v_mad_co_u64_u32 v[26:27], null, s16, v81, 0
	v_dual_mov_b32 v12, v25 :: v_dual_add_nc_u32 v51, 0x6b3, v80
	s_delay_alu instid0(VALU_DEP_1)
	v_mad_co_u64_u32 v[48:49], null, s17, v15, v[12:13]
	v_add_co_u32 v12, vcc_lo, v136, v13
	s_wait_alu 0xfffd
	v_add_co_ci_u32_e32 v13, vcc_lo, v137, v14, vcc_lo
	v_mov_b32_e32 v14, v27
	v_mul_hi_u32 v27, 0xbf112a8b, v82
	v_mad_co_u64_u32 v[49:50], null, s16, v51, 0
	s_clause 0x2
	global_store_b128 v[4:5], v[8:11], off
	global_store_b128 v[6:7], v[170:173], off
	;; [unrolled: 1-line block ×3, first 2 shown]
	v_mad_co_u64_u32 v[14:15], null, s17, v81, v[14:15]
	v_add_nc_u32_e32 v15, 0x80a, v80
	v_mov_b32_e32 v25, v48
	v_lshrrev_b32_e32 v9, 8, v27
	s_delay_alu instid0(VALU_DEP_4) | instskip(NEXT) | instid1(VALU_DEP_2)
	v_dual_mov_b32 v6, v50 :: v_dual_mov_b32 v27, v14
	v_mul_u32_u24_e32 v10, 0x157, v9
	s_delay_alu instid0(VALU_DEP_2) | instskip(SKIP_1) | instid1(VALU_DEP_3)
	v_mad_co_u64_u32 v[6:7], null, s17, v51, v[6:7]
	v_mad_co_u64_u32 v[7:8], null, s16, v15, 0
	v_sub_nc_u32_e32 v10, v82, v10
	v_lshlrev_b64_e32 v[4:5], 4, v[24:25]
	s_delay_alu instid0(VALU_DEP_4) | instskip(NEXT) | instid1(VALU_DEP_3)
	v_mov_b32_e32 v50, v6
	v_mad_u32_u24 v48, 0x961, v9, v10
	v_mov_b32_e32 v6, v8
	v_lshlrev_b64_e32 v[9:10], 4, v[26:27]
	v_add_co_u32 v4, vcc_lo, v136, v4
	s_delay_alu instid0(VALU_DEP_4) | instskip(NEXT) | instid1(VALU_DEP_4)
	v_mad_co_u64_u32 v[11:12], null, s16, v48, 0
	v_mad_co_u64_u32 v[24:25], null, s17, v15, v[6:7]
	v_add_nc_u32_e32 v27, 0x157, v48
	v_lshlrev_b64_e32 v[13:14], 4, v[49:50]
	s_wait_alu 0xfffd
	v_add_co_ci_u32_e32 v5, vcc_lo, v137, v5, vcc_lo
	v_add_co_u32 v9, vcc_lo, v136, v9
	v_mad_co_u64_u32 v[25:26], null, s16, v27, 0
	s_wait_alu 0xfffd
	v_add_co_ci_u32_e32 v10, vcc_lo, v137, v10, vcc_lo
	v_mov_b32_e32 v6, v12
	v_add_co_u32 v12, vcc_lo, v136, v13
	v_mov_b32_e32 v8, v24
	s_wait_alu 0xfffd
	v_add_co_ci_u32_e32 v13, vcc_lo, v137, v14, vcc_lo
	v_mad_co_u64_u32 v[14:15], null, s17, v48, v[6:7]
	s_clause 0x2
	global_store_b128 v[4:5], v[162:165], off
	global_store_b128 v[9:10], v[158:161], off
	;; [unrolled: 1-line block ×3, first 2 shown]
	v_lshlrev_b64_e32 v[5:6], 4, v[7:8]
	v_mov_b32_e32 v4, v26
	v_add_nc_u32_e32 v24, 0x2ae, v48
	v_dual_mov_b32 v12, v14 :: v_dual_add_nc_u32 v49, 0x55c, v48
	s_delay_alu instid0(VALU_DEP_3) | instskip(NEXT) | instid1(VALU_DEP_3)
	v_mad_co_u64_u32 v[7:8], null, s17, v27, v[4:5]
	v_mad_co_u64_u32 v[8:9], null, s16, v24, 0
	v_add_co_u32 v4, vcc_lo, v136, v5
	v_add_nc_u32_e32 v27, 0x405, v48
	s_wait_alu 0xfffd
	v_add_co_ci_u32_e32 v5, vcc_lo, v137, v6, vcc_lo
	v_lshlrev_b64_e32 v[10:11], 4, v[11:12]
	v_mov_b32_e32 v26, v7
	v_mov_b32_e32 v6, v9
	v_mad_co_u64_u32 v[12:13], null, s16, v27, 0
	global_store_b128 v[4:5], v[150:153], off
	v_lshlrev_b64_e32 v[14:15], 4, v[25:26]
	v_mad_co_u64_u32 v[6:7], null, s17, v24, v[6:7]
	v_add_co_u32 v10, vcc_lo, v136, v10
	s_wait_alu 0xfffd
	v_add_co_ci_u32_e32 v11, vcc_lo, v137, v11, vcc_lo
	v_mov_b32_e32 v7, v13
	v_add_co_u32 v13, vcc_lo, v136, v14
	s_wait_alu 0xfffd
	v_add_co_ci_u32_e32 v14, vcc_lo, v137, v15, vcc_lo
	v_mov_b32_e32 v9, v6
	global_store_b128 v[10:11], v[104:107], off
	v_add_nc_u32_e32 v10, 0x93, v200
	global_store_b128 v[13:14], v[146:149], off
	v_add_nc_u32_e32 v14, 0x6b3, v48
	v_lshlrev_b64_e32 v[5:6], 4, v[8:9]
	v_mad_co_u64_u32 v[24:25], null, s16, v49, 0
	v_mul_hi_u32 v9, 0xbf112a8b, v10
	v_mad_co_u64_u32 v[26:27], null, s17, v27, v[7:8]
	v_add_nc_u32_e32 v48, 0x80a, v48
	s_delay_alu instid0(VALU_DEP_4) | instskip(NEXT) | instid1(VALU_DEP_4)
	v_mov_b32_e32 v4, v25
	v_lshrrev_b32_e32 v15, 8, v9
	s_delay_alu instid0(VALU_DEP_4) | instskip(NEXT) | instid1(VALU_DEP_3)
	v_mov_b32_e32 v13, v26
	v_mad_co_u64_u32 v[7:8], null, s17, v49, v[4:5]
	s_delay_alu instid0(VALU_DEP_3) | instskip(NEXT) | instid1(VALU_DEP_3)
	v_mul_u32_u24_e32 v11, 0x157, v15
	v_lshlrev_b64_e32 v[8:9], 4, v[12:13]
	v_add_co_u32 v4, vcc_lo, v136, v5
	s_wait_alu 0xfffd
	v_add_co_ci_u32_e32 v5, vcc_lo, v137, v6, vcc_lo
	v_sub_nc_u32_e32 v26, v10, v11
	v_mad_co_u64_u32 v[12:13], null, s16, v48, 0
	v_add_co_u32 v8, vcc_lo, v136, v8
	s_delay_alu instid0(VALU_DEP_3) | instskip(SKIP_4) | instid1(VALU_DEP_2)
	v_mad_u32_u24 v50, 0x961, v15, v26
	v_mov_b32_e32 v25, v7
	v_mad_co_u64_u32 v[6:7], null, s16, v14, 0
	s_wait_alu 0xfffd
	v_add_co_ci_u32_e32 v9, vcc_lo, v137, v9, vcc_lo
	v_mad_co_u64_u32 v[14:15], null, s17, v14, v[7:8]
	v_mov_b32_e32 v7, v13
	v_add_nc_u32_e32 v15, 0x157, v50
	s_delay_alu instid0(VALU_DEP_2) | instskip(NEXT) | instid1(VALU_DEP_4)
	v_mad_co_u64_u32 v[48:49], null, s17, v48, v[7:8]
	v_mov_b32_e32 v7, v14
	s_delay_alu instid0(VALU_DEP_3) | instskip(SKIP_1) | instid1(VALU_DEP_4)
	v_mad_co_u64_u32 v[26:27], null, s16, v15, 0
	v_add_nc_u32_e32 v49, 0x405, v50
	v_dual_mov_b32 v13, v48 :: v_dual_add_nc_u32 v48, 0x2ae, v50
	v_lshlrev_b64_e32 v[10:11], 4, v[24:25]
	v_mad_co_u64_u32 v[24:25], null, s16, v50, 0
	s_delay_alu instid0(VALU_DEP_2) | instskip(SKIP_1) | instid1(VALU_DEP_3)
	v_add_co_u32 v10, vcc_lo, v136, v10
	s_wait_alu 0xfffd
	v_add_co_ci_u32_e32 v11, vcc_lo, v137, v11, vcc_lo
	s_clause 0x2
	global_store_b128 v[4:5], v[132:135], off
	global_store_b128 v[8:9], v[128:131], off
	;; [unrolled: 1-line block ×3, first 2 shown]
	v_lshlrev_b64_e32 v[5:6], 4, v[6:7]
	v_dual_mov_b32 v4, v25 :: v_dual_mov_b32 v7, v27
	s_delay_alu instid0(VALU_DEP_1) | instskip(SKIP_2) | instid1(VALU_DEP_4)
	v_mad_co_u64_u32 v[8:9], null, s17, v50, v[4:5]
	v_add_co_u32 v4, vcc_lo, v136, v5
	s_wait_alu 0xfffd
	v_add_co_ci_u32_e32 v5, vcc_lo, v137, v6, vcc_lo
	s_delay_alu instid0(VALU_DEP_3) | instskip(SKIP_3) | instid1(VALU_DEP_3)
	v_mad_co_u64_u32 v[9:10], null, s17, v15, v[7:8]
	v_mov_b32_e32 v25, v8
	v_lshlrev_b64_e32 v[6:7], 4, v[12:13]
	v_mad_co_u64_u32 v[14:15], null, s16, v49, 0
	v_lshlrev_b64_e32 v[10:11], 4, v[24:25]
	v_mov_b32_e32 v27, v9
	v_mad_co_u64_u32 v[8:9], null, s16, v48, 0
	v_add_co_u32 v6, vcc_lo, v136, v6
	s_wait_alu 0xfffd
	v_add_co_ci_u32_e32 v7, vcc_lo, v137, v7, vcc_lo
	v_add_co_u32 v10, vcc_lo, v136, v10
	v_lshlrev_b64_e32 v[12:13], 4, v[26:27]
	s_wait_alu 0xfffd
	v_add_co_ci_u32_e32 v11, vcc_lo, v137, v11, vcc_lo
	s_delay_alu instid0(VALU_DEP_3) | instskip(SKIP_1) | instid1(VALU_DEP_4)
	v_mad_co_u64_u32 v[24:25], null, s17, v48, v[9:10]
	v_mov_b32_e32 v9, v15
	v_add_co_u32 v12, vcc_lo, v136, v12
	s_wait_alu 0xfffd
	v_add_co_ci_u32_e32 v13, vcc_lo, v137, v13, vcc_lo
	s_delay_alu instid0(VALU_DEP_3)
	v_mad_co_u64_u32 v[25:26], null, s17, v49, v[9:10]
	v_add_nc_u32_e32 v26, 0xc4, v200
	s_clause 0x3
	global_store_b128 v[4:5], v[120:123], off
	global_store_b128 v[6:7], v[116:119], off
	;; [unrolled: 1-line block ×4, first 2 shown]
	v_dual_mov_b32 v9, v24 :: v_dual_add_nc_u32 v12, 0x55c, v50
	v_add_nc_u32_e32 v24, 0x6b3, v50
	v_mul_hi_u32 v13, 0xbf112a8b, v26
	v_mov_b32_e32 v15, v25
	s_delay_alu instid0(VALU_DEP_4) | instskip(SKIP_2) | instid1(VALU_DEP_4)
	v_lshlrev_b64_e32 v[4:5], 4, v[8:9]
	v_mad_co_u64_u32 v[6:7], null, s16, v12, 0
	v_mad_co_u64_u32 v[8:9], null, s16, v24, 0
	v_lshlrev_b64_e32 v[10:11], 4, v[14:15]
	v_lshrrev_b32_e32 v27, 8, v13
	v_add_co_u32 v4, vcc_lo, v136, v4
	s_wait_alu 0xfffd
	v_add_co_ci_u32_e32 v5, vcc_lo, v137, v5, vcc_lo
	s_delay_alu instid0(VALU_DEP_3)
	v_mul_u32_u24_e32 v48, 0x157, v27
	v_mad_co_u64_u32 v[12:13], null, s17, v12, v[7:8]
	v_add_nc_u32_e32 v15, 0x80a, v50
	v_mov_b32_e32 v7, v9
	v_add_co_u32 v9, vcc_lo, v136, v10
	s_wait_alu 0xfffd
	v_add_co_ci_u32_e32 v10, vcc_lo, v137, v11, vcc_lo
	v_sub_nc_u32_e32 v11, v26, v48
	v_mad_co_u64_u32 v[13:14], null, s16, v15, 0
	v_mad_co_u64_u32 v[24:25], null, s17, v24, v[7:8]
	s_delay_alu instid0(VALU_DEP_3)
	v_mad_u32_u24 v50, 0x961, v27, v11
	v_mov_b32_e32 v7, v12
	s_clause 0x1
	global_store_b128 v[4:5], v[108:111], off
	global_store_b128 v[9:10], v[100:103], off
	v_mov_b32_e32 v4, v14
	v_add_nc_u32_e32 v48, 0x157, v50
	v_lshlrev_b64_e32 v[5:6], 4, v[6:7]
	v_mov_b32_e32 v9, v24
	v_add_nc_u32_e32 v51, 0x2ae, v50
	s_delay_alu instid0(VALU_DEP_3)
	v_mad_co_u64_u32 v[10:11], null, s17, v15, v[4:5]
	v_mad_co_u64_u32 v[11:12], null, s16, v50, 0
	v_add_co_u32 v4, vcc_lo, v136, v5
	s_wait_alu 0xfffd
	v_add_co_ci_u32_e32 v5, vcc_lo, v137, v6, vcc_lo
	v_lshlrev_b64_e32 v[6:7], 4, v[8:9]
	v_mov_b32_e32 v14, v10
	v_mad_co_u64_u32 v[9:10], null, s16, v48, 0
	v_mov_b32_e32 v8, v12
	v_mad_co_u64_u32 v[24:25], null, s16, v51, 0
	s_delay_alu instid0(VALU_DEP_4) | instskip(SKIP_1) | instid1(VALU_DEP_4)
	v_lshlrev_b64_e32 v[12:13], 4, v[13:14]
	v_add_co_u32 v6, vcc_lo, v136, v6
	v_mad_co_u64_u32 v[14:15], null, s17, v50, v[8:9]
	v_mov_b32_e32 v8, v10
	s_wait_alu 0xfffd
	v_add_co_ci_u32_e32 v7, vcc_lo, v137, v7, vcc_lo
	v_add_co_u32 v26, vcc_lo, v136, v12
	s_delay_alu instid0(VALU_DEP_3)
	v_mad_co_u64_u32 v[48:49], null, s17, v48, v[8:9]
	v_mov_b32_e32 v12, v14
	s_wait_alu 0xfffd
	v_add_co_ci_u32_e32 v27, vcc_lo, v137, v13, vcc_lo
	s_clause 0x2
	global_store_b128 v[4:5], v[96:99], off
	global_store_b128 v[6:7], v[92:95], off
	;; [unrolled: 1-line block ×3, first 2 shown]
	v_lshlrev_b64_e32 v[5:6], 4, v[11:12]
	v_dual_mov_b32 v4, v25 :: v_dual_add_nc_u32 v15, 0x405, v50
	v_mov_b32_e32 v10, v48
	v_add_nc_u32_e32 v26, 0x55c, v50
	s_delay_alu instid0(VALU_DEP_3) | instskip(NEXT) | instid1(VALU_DEP_4)
	v_mad_co_u64_u32 v[7:8], null, s17, v51, v[4:5]
	v_mad_co_u64_u32 v[11:12], null, s16, v15, 0
	s_delay_alu instid0(VALU_DEP_4) | instskip(SKIP_3) | instid1(VALU_DEP_4)
	v_lshlrev_b64_e32 v[8:9], 4, v[9:10]
	v_add_co_u32 v4, vcc_lo, v136, v5
	s_wait_alu 0xfffd
	v_add_co_ci_u32_e32 v5, vcc_lo, v137, v6, vcc_lo
	v_dual_mov_b32 v25, v7 :: v_dual_mov_b32 v6, v12
	s_delay_alu instid0(VALU_DEP_4)
	v_add_co_u32 v7, vcc_lo, v136, v8
	v_mad_co_u64_u32 v[13:14], null, s16, v26, 0
	s_wait_alu 0xfffd
	v_add_co_ci_u32_e32 v8, vcc_lo, v137, v9, vcc_lo
	v_lshlrev_b64_e32 v[9:10], 4, v[24:25]
	v_mad_co_u64_u32 v[24:25], null, s17, v15, v[6:7]
	s_delay_alu instid0(VALU_DEP_4)
	v_dual_mov_b32 v6, v14 :: v_dual_add_nc_u32 v25, 0xf5, v200
	global_store_b128 v[4:5], v[56:59], off
	v_add_co_u32 v9, vcc_lo, v136, v9
	v_mul_hi_u32 v27, 0xbf112a8b, v25
	v_mad_co_u64_u32 v[14:15], null, s17, v26, v[6:7]
	v_add_nc_u32_e32 v15, 0x6b3, v50
	s_wait_alu 0xfffd
	v_add_co_ci_u32_e32 v10, vcc_lo, v137, v10, vcc_lo
	v_mov_b32_e32 v12, v24
	s_clause 0x1
	global_store_b128 v[7:8], v[219:222], off
	global_store_b128 v[9:10], v[76:79], off
	v_lshrrev_b32_e32 v24, 8, v27
	v_mad_co_u64_u32 v[6:7], null, s16, v15, 0
	v_lshlrev_b64_e32 v[8:9], 4, v[13:14]
	v_add_nc_u32_e32 v26, 0x80a, v50
	s_delay_alu instid0(VALU_DEP_4) | instskip(SKIP_1) | instid1(VALU_DEP_4)
	v_mul_u32_u24_e32 v10, 0x157, v24
	v_lshlrev_b64_e32 v[4:5], 4, v[11:12]
	v_mad_co_u64_u32 v[12:13], null, s17, v15, v[7:8]
	s_delay_alu instid0(VALU_DEP_3) | instskip(SKIP_1) | instid1(VALU_DEP_4)
	v_sub_nc_u32_e32 v14, v25, v10
	v_mad_co_u64_u32 v[10:11], null, s16, v26, 0
	v_add_co_u32 v4, vcc_lo, v136, v4
	s_delay_alu instid0(VALU_DEP_3)
	v_mad_u32_u24 v24, 0x961, v24, v14
	s_wait_alu 0xfffd
	v_add_co_ci_u32_e32 v5, vcc_lo, v137, v5, vcc_lo
	v_add_co_u32 v8, vcc_lo, v136, v8
	v_mov_b32_e32 v7, v12
	v_mad_co_u64_u32 v[11:12], null, s17, v26, v[11:12]
	s_wait_alu 0xfffd
	v_add_co_ci_u32_e32 v9, vcc_lo, v137, v9, vcc_lo
	v_mad_co_u64_u32 v[13:14], null, s16, v24, 0
	v_add_nc_u32_e32 v12, 0x157, v24
	s_clause 0x1
	global_store_b128 v[4:5], v[72:75], off
	global_store_b128 v[8:9], v[68:71], off
	v_lshlrev_b64_e32 v[4:5], 4, v[6:7]
	v_add_nc_u32_e32 v25, 0x405, v24
	v_mad_co_u64_u32 v[7:8], null, s16, v12, 0
	v_dual_mov_b32 v6, v14 :: v_dual_add_nc_u32 v27, 0x6b3, v24
	s_delay_alu instid0(VALU_DEP_4) | instskip(SKIP_2) | instid1(VALU_DEP_3)
	v_add_co_u32 v4, vcc_lo, v136, v4
	s_wait_alu 0xfffd
	v_add_co_ci_u32_e32 v5, vcc_lo, v137, v5, vcc_lo
	v_mad_co_u64_u32 v[14:15], null, s17, v24, v[6:7]
	v_mov_b32_e32 v6, v8
	v_lshlrev_b64_e32 v[8:9], 4, v[10:11]
	v_add_nc_u32_e32 v15, 0x2ae, v24
	global_store_b128 v[4:5], v[64:67], off
	v_mad_co_u64_u32 v[10:11], null, s17, v12, v[6:7]
	v_add_co_u32 v8, vcc_lo, v136, v8
	s_wait_alu 0xfffd
	v_add_co_ci_u32_e32 v9, vcc_lo, v137, v9, vcc_lo
	v_mad_co_u64_u32 v[11:12], null, s16, v15, 0
	v_lshlrev_b64_e32 v[4:5], 4, v[13:14]
	v_mad_co_u64_u32 v[13:14], null, s16, v25, 0
	global_store_b128 v[8:9], v[60:63], off
	v_mov_b32_e32 v8, v10
	v_mov_b32_e32 v6, v12
	v_add_co_u32 v4, vcc_lo, v136, v4
	s_delay_alu instid0(VALU_DEP_3) | instskip(SKIP_3) | instid1(VALU_DEP_3)
	v_lshlrev_b64_e32 v[7:8], 4, v[7:8]
	s_wait_alu 0xfffd
	v_add_co_ci_u32_e32 v5, vcc_lo, v137, v5, vcc_lo
	v_mov_b32_e32 v9, v14
	v_mad_co_u64_u32 v[14:15], null, s17, v15, v[6:7]
	v_add_nc_u32_e32 v15, 0x126, v200
	global_store_b128 v[4:5], v[28:31], off
	v_add_nc_u32_e32 v28, 0x80a, v24
	v_mad_co_u64_u32 v[9:10], null, s17, v25, v[9:10]
	v_add_co_u32 v6, vcc_lo, v136, v7
	s_wait_alu 0xfffd
	v_add_co_ci_u32_e32 v7, vcc_lo, v137, v8, vcc_lo
	v_mul_hi_u32 v8, 0xbf112a8b, v15
	v_dual_mov_b32 v12, v14 :: v_dual_add_nc_u32 v25, 0x55c, v24
	v_mov_b32_e32 v14, v9
	global_store_b128 v[6:7], v[52:55], off
	v_mad_co_u64_u32 v[6:7], null, s16, v25, 0
	v_lshrrev_b32_e32 v26, 8, v8
	v_lshlrev_b64_e32 v[4:5], 4, v[11:12]
	v_lshlrev_b64_e32 v[8:9], 4, v[13:14]
	v_mad_co_u64_u32 v[10:11], null, s16, v27, 0
	s_delay_alu instid0(VALU_DEP_4) | instskip(NEXT) | instid1(VALU_DEP_4)
	v_mul_u32_u24_e32 v14, 0x157, v26
	v_add_co_u32 v4, vcc_lo, v136, v4
	s_delay_alu instid0(VALU_DEP_4)
	v_mad_co_u64_u32 v[12:13], null, s17, v25, v[7:8]
	s_wait_alu 0xfffd
	v_add_co_ci_u32_e32 v5, vcc_lo, v137, v5, vcc_lo
	v_sub_nc_u32_e32 v15, v15, v14
	v_add_co_u32 v8, vcc_lo, v136, v8
	v_mov_b32_e32 v7, v11
	v_mad_co_u64_u32 v[13:14], null, s16, v28, 0
	s_delay_alu instid0(VALU_DEP_4)
	v_mad_u32_u24 v15, 0x961, v26, v15
	global_store_b128 v[4:5], v[0:3], off
	v_mad_co_u64_u32 v[24:25], null, s17, v27, v[7:8]
	v_mov_b32_e32 v7, v12
	v_mad_co_u64_u32 v[25:26], null, s16, v15, 0
	v_mov_b32_e32 v0, v14
	s_wait_alu 0xfffd
	v_add_co_ci_u32_e32 v9, vcc_lo, v137, v9, vcc_lo
	v_lshlrev_b64_e32 v[1:2], 4, v[6:7]
	v_mov_b32_e32 v11, v24
	global_store_b128 v[8:9], v[44:47], off
	v_add_nc_u32_e32 v9, 0x157, v15
	v_mad_co_u64_u32 v[3:4], null, s17, v28, v[0:1]
	v_add_co_u32 v1, vcc_lo, v136, v1
	v_mov_b32_e32 v0, v26
	s_wait_alu 0xfffd
	v_add_co_ci_u32_e32 v2, vcc_lo, v137, v2, vcc_lo
	v_lshlrev_b64_e32 v[4:5], 4, v[10:11]
	v_mov_b32_e32 v14, v3
	v_mad_co_u64_u32 v[6:7], null, s17, v15, v[0:1]
	global_store_b128 v[1:2], v[40:43], off
	v_mad_co_u64_u32 v[7:8], null, s16, v9, 0
	v_lshlrev_b64_e32 v[1:2], 4, v[13:14]
	scratch_load_b128 v[11:14], off, off offset:36 th:TH_LOAD_LU ; 16-byte Folded Reload
	v_add_co_u32 v3, vcc_lo, v136, v4
	s_wait_alu 0xfffd
	v_add_co_ci_u32_e32 v4, vcc_lo, v137, v5, vcc_lo
	v_mov_b32_e32 v26, v6
	v_mov_b32_e32 v0, v8
	v_add_nc_u32_e32 v10, 0x405, v15
	global_store_b128 v[3:4], v[36:39], off
	v_lshlrev_b64_e32 v[3:4], 4, v[25:26]
	v_mad_co_u64_u32 v[5:6], null, s17, v9, v[0:1]
	v_add_co_u32 v0, vcc_lo, v136, v1
	s_wait_alu 0xfffd
	v_add_co_ci_u32_e32 v1, vcc_lo, v137, v2, vcc_lo
	s_delay_alu instid0(VALU_DEP_4)
	v_add_co_u32 v2, vcc_lo, v136, v3
	s_wait_alu 0xfffd
	v_add_co_ci_u32_e32 v3, vcc_lo, v137, v4, vcc_lo
	v_dual_mov_b32 v8, v5 :: v_dual_add_nc_u32 v9, 0x2ae, v15
	global_store_b128 v[0:1], v[32:35], off
	v_mad_co_u64_u32 v[4:5], null, s16, v9, 0
	v_lshlrev_b64_e32 v[0:1], 4, v[7:8]
	s_delay_alu instid0(VALU_DEP_1) | instskip(SKIP_1) | instid1(VALU_DEP_2)
	v_add_co_u32 v0, vcc_lo, v136, v0
	s_wait_alu 0xfffd
	v_add_co_ci_u32_e32 v1, vcc_lo, v137, v1, vcc_lo
	s_wait_loadcnt 0x0
	global_store_b128 v[2:3], v[11:14], off
	v_add_nc_u32_e32 v12, 0x55c, v15
	v_mad_co_u64_u32 v[2:3], null, s16, v10, 0
	global_store_b128 v[0:1], v[16:19], off
	v_mad_co_u64_u32 v[6:7], null, s16, v12, 0
	v_add_nc_u32_e32 v24, 0x6b3, v15
	v_add_nc_u32_e32 v15, 0x80a, v15
	s_delay_alu instid0(VALU_DEP_3) | instskip(SKIP_3) | instid1(VALU_DEP_4)
	v_mad_co_u64_u32 v[8:9], null, s17, v9, v[5:6]
	v_mad_co_u64_u32 v[9:10], null, s17, v10, v[3:4]
	v_mov_b32_e32 v3, v7
	v_mad_co_u64_u32 v[10:11], null, s16, v24, 0
	v_mov_b32_e32 v5, v8
	s_delay_alu instid0(VALU_DEP_3) | instskip(SKIP_1) | instid1(VALU_DEP_4)
	v_mad_co_u64_u32 v[12:13], null, s17, v12, v[3:4]
	v_mad_co_u64_u32 v[13:14], null, s16, v15, 0
	v_dual_mov_b32 v0, v11 :: v_dual_mov_b32 v3, v9
	s_delay_alu instid0(VALU_DEP_4) | instskip(NEXT) | instid1(VALU_DEP_4)
	v_lshlrev_b64_e32 v[4:5], 4, v[4:5]
	v_mov_b32_e32 v7, v12
	s_delay_alu instid0(VALU_DEP_3) | instskip(NEXT) | instid1(VALU_DEP_4)
	v_mad_co_u64_u32 v[0:1], null, s17, v24, v[0:1]
	v_lshlrev_b64_e32 v[2:3], 4, v[2:3]
	v_mov_b32_e32 v1, v14
	v_add_co_u32 v4, vcc_lo, v136, v4
	v_lshlrev_b64_e32 v[6:7], 4, v[6:7]
	s_wait_alu 0xfffd
	v_add_co_ci_u32_e32 v5, vcc_lo, v137, v5, vcc_lo
	v_mov_b32_e32 v11, v0
	v_add_co_u32 v0, vcc_lo, v136, v2
	v_mad_co_u64_u32 v[8:9], null, s17, v15, v[1:2]
	s_wait_alu 0xfffd
	v_add_co_ci_u32_e32 v1, vcc_lo, v137, v3, vcc_lo
	v_add_co_u32 v6, vcc_lo, v136, v6
	s_wait_alu 0xfffd
	v_add_co_ci_u32_e32 v7, vcc_lo, v137, v7, vcc_lo
	s_clause 0x2
	global_store_b128 v[4:5], v[20:23], off
	global_store_b128 v[0:1], v[225:228], off
	;; [unrolled: 1-line block ×3, first 2 shown]
	scratch_load_b128 v[4:7], off, off offset:16 th:TH_LOAD_LU ; 16-byte Folded Reload
	v_lshlrev_b64_e32 v[2:3], 4, v[10:11]
	v_mov_b32_e32 v14, v8
	s_delay_alu instid0(VALU_DEP_2) | instskip(SKIP_1) | instid1(VALU_DEP_3)
	v_add_co_u32 v2, vcc_lo, v136, v2
	s_wait_alu 0xfffd
	v_add_co_ci_u32_e32 v3, vcc_lo, v137, v3, vcc_lo
	s_delay_alu instid0(VALU_DEP_3) | instskip(NEXT) | instid1(VALU_DEP_1)
	v_lshlrev_b64_e32 v[8:9], 4, v[13:14]
	v_add_co_u32 v8, vcc_lo, v136, v8
	s_wait_alu 0xfffd
	s_delay_alu instid0(VALU_DEP_2)
	v_add_co_ci_u32_e32 v9, vcc_lo, v137, v9, vcc_lo
	s_wait_loadcnt 0x0
	global_store_b128 v[2:3], v[4:7], off
	scratch_load_b128 v[0:3], off, off th:TH_LOAD_LU ; 16-byte Folded Reload
	s_wait_loadcnt 0x0
	global_store_b128 v[8:9], v[0:3], off
.LBB0_15:
	s_endpgm
	.section	.rodata,"a",@progbits
	.p2align	6, 0x0
	.amdhsa_kernel fft_rtc_back_len2401_factors_7_7_7_7_wgs_49_tpt_49_halfLds_dp_op_CI_CI_sbrr_dirReg
		.amdhsa_group_segment_fixed_size 0
		.amdhsa_private_segment_fixed_size 540
		.amdhsa_kernarg_size 104
		.amdhsa_user_sgpr_count 2
		.amdhsa_user_sgpr_dispatch_ptr 0
		.amdhsa_user_sgpr_queue_ptr 0
		.amdhsa_user_sgpr_kernarg_segment_ptr 1
		.amdhsa_user_sgpr_dispatch_id 0
		.amdhsa_user_sgpr_private_segment_size 0
		.amdhsa_wavefront_size32 1
		.amdhsa_uses_dynamic_stack 0
		.amdhsa_enable_private_segment 1
		.amdhsa_system_sgpr_workgroup_id_x 1
		.amdhsa_system_sgpr_workgroup_id_y 0
		.amdhsa_system_sgpr_workgroup_id_z 0
		.amdhsa_system_sgpr_workgroup_info 0
		.amdhsa_system_vgpr_workitem_id 0
		.amdhsa_next_free_vgpr 256
		.amdhsa_next_free_sgpr 43
		.amdhsa_reserve_vcc 1
		.amdhsa_float_round_mode_32 0
		.amdhsa_float_round_mode_16_64 0
		.amdhsa_float_denorm_mode_32 3
		.amdhsa_float_denorm_mode_16_64 3
		.amdhsa_fp16_overflow 0
		.amdhsa_workgroup_processor_mode 1
		.amdhsa_memory_ordered 1
		.amdhsa_forward_progress 0
		.amdhsa_round_robin_scheduling 0
		.amdhsa_exception_fp_ieee_invalid_op 0
		.amdhsa_exception_fp_denorm_src 0
		.amdhsa_exception_fp_ieee_div_zero 0
		.amdhsa_exception_fp_ieee_overflow 0
		.amdhsa_exception_fp_ieee_underflow 0
		.amdhsa_exception_fp_ieee_inexact 0
		.amdhsa_exception_int_div_zero 0
	.end_amdhsa_kernel
	.text
.Lfunc_end0:
	.size	fft_rtc_back_len2401_factors_7_7_7_7_wgs_49_tpt_49_halfLds_dp_op_CI_CI_sbrr_dirReg, .Lfunc_end0-fft_rtc_back_len2401_factors_7_7_7_7_wgs_49_tpt_49_halfLds_dp_op_CI_CI_sbrr_dirReg
                                        ; -- End function
	.section	.AMDGPU.csdata,"",@progbits
; Kernel info:
; codeLenInByte = 38320
; NumSgprs: 45
; NumVgprs: 256
; ScratchSize: 540
; MemoryBound: 1
; FloatMode: 240
; IeeeMode: 1
; LDSByteSize: 0 bytes/workgroup (compile time only)
; SGPRBlocks: 5
; VGPRBlocks: 31
; NumSGPRsForWavesPerEU: 45
; NumVGPRsForWavesPerEU: 256
; Occupancy: 5
; WaveLimiterHint : 1
; COMPUTE_PGM_RSRC2:SCRATCH_EN: 1
; COMPUTE_PGM_RSRC2:USER_SGPR: 2
; COMPUTE_PGM_RSRC2:TRAP_HANDLER: 0
; COMPUTE_PGM_RSRC2:TGID_X_EN: 1
; COMPUTE_PGM_RSRC2:TGID_Y_EN: 0
; COMPUTE_PGM_RSRC2:TGID_Z_EN: 0
; COMPUTE_PGM_RSRC2:TIDIG_COMP_CNT: 0
	.text
	.p2alignl 7, 3214868480
	.fill 96, 4, 3214868480
	.type	__hip_cuid_b792fc117c8f260a,@object ; @__hip_cuid_b792fc117c8f260a
	.section	.bss,"aw",@nobits
	.globl	__hip_cuid_b792fc117c8f260a
__hip_cuid_b792fc117c8f260a:
	.byte	0                               ; 0x0
	.size	__hip_cuid_b792fc117c8f260a, 1

	.ident	"AMD clang version 19.0.0git (https://github.com/RadeonOpenCompute/llvm-project roc-6.4.0 25133 c7fe45cf4b819c5991fe208aaa96edf142730f1d)"
	.section	".note.GNU-stack","",@progbits
	.addrsig
	.addrsig_sym __hip_cuid_b792fc117c8f260a
	.amdgpu_metadata
---
amdhsa.kernels:
  - .args:
      - .actual_access:  read_only
        .address_space:  global
        .offset:         0
        .size:           8
        .value_kind:     global_buffer
      - .offset:         8
        .size:           8
        .value_kind:     by_value
      - .actual_access:  read_only
        .address_space:  global
        .offset:         16
        .size:           8
        .value_kind:     global_buffer
      - .actual_access:  read_only
        .address_space:  global
        .offset:         24
        .size:           8
        .value_kind:     global_buffer
      - .actual_access:  read_only
        .address_space:  global
        .offset:         32
        .size:           8
        .value_kind:     global_buffer
      - .offset:         40
        .size:           8
        .value_kind:     by_value
      - .actual_access:  read_only
        .address_space:  global
        .offset:         48
        .size:           8
        .value_kind:     global_buffer
      - .actual_access:  read_only
        .address_space:  global
        .offset:         56
        .size:           8
        .value_kind:     global_buffer
      - .offset:         64
        .size:           4
        .value_kind:     by_value
      - .actual_access:  read_only
        .address_space:  global
        .offset:         72
        .size:           8
        .value_kind:     global_buffer
      - .actual_access:  read_only
        .address_space:  global
        .offset:         80
        .size:           8
        .value_kind:     global_buffer
      - .actual_access:  read_only
        .address_space:  global
        .offset:         88
        .size:           8
        .value_kind:     global_buffer
      - .actual_access:  write_only
        .address_space:  global
        .offset:         96
        .size:           8
        .value_kind:     global_buffer
    .group_segment_fixed_size: 0
    .kernarg_segment_align: 8
    .kernarg_segment_size: 104
    .language:       OpenCL C
    .language_version:
      - 2
      - 0
    .max_flat_workgroup_size: 49
    .name:           fft_rtc_back_len2401_factors_7_7_7_7_wgs_49_tpt_49_halfLds_dp_op_CI_CI_sbrr_dirReg
    .private_segment_fixed_size: 540
    .sgpr_count:     45
    .sgpr_spill_count: 0
    .symbol:         fft_rtc_back_len2401_factors_7_7_7_7_wgs_49_tpt_49_halfLds_dp_op_CI_CI_sbrr_dirReg.kd
    .uniform_work_group_size: 1
    .uses_dynamic_stack: false
    .vgpr_count:     256
    .vgpr_spill_count: 222
    .wavefront_size: 32
    .workgroup_processor_mode: 1
amdhsa.target:   amdgcn-amd-amdhsa--gfx1201
amdhsa.version:
  - 1
  - 2
...

	.end_amdgpu_metadata
